;; amdgpu-corpus repo=ROCm/rocFFT kind=compiled arch=gfx1201 opt=O3
	.text
	.amdgcn_target "amdgcn-amd-amdhsa--gfx1201"
	.amdhsa_code_object_version 6
	.protected	bluestein_single_back_len918_dim1_dp_op_CI_CI ; -- Begin function bluestein_single_back_len918_dim1_dp_op_CI_CI
	.globl	bluestein_single_back_len918_dim1_dp_op_CI_CI
	.p2align	8
	.type	bluestein_single_back_len918_dim1_dp_op_CI_CI,@function
bluestein_single_back_len918_dim1_dp_op_CI_CI: ; @bluestein_single_back_len918_dim1_dp_op_CI_CI
; %bb.0:
	s_load_b128 s[8:11], s[0:1], 0x28
	v_mul_u32_u24_e32 v1, 0x283, v0
	s_mov_b32 s2, exec_lo
	v_mov_b32_e32 v4, 0
	s_delay_alu instid0(VALU_DEP_2) | instskip(NEXT) | instid1(VALU_DEP_1)
	v_lshrrev_b32_e32 v1, 16, v1
	v_add_nc_u32_e32 v3, ttmp9, v1
	s_delay_alu instid0(VALU_DEP_1)
	v_mov_b32_e32 v2, v3
	scratch_store_b64 off, v[2:3], off      ; 8-byte Folded Spill
	s_wait_kmcnt 0x0
	v_cmpx_gt_u64_e64 s[8:9], v[3:4]
	s_cbranch_execz .LBB0_23
; %bb.1:
	s_clause 0x1
	s_load_b64 s[8:9], s[0:1], 0x0
	s_load_b64 s[12:13], s[0:1], 0x38
	v_mul_lo_u16 v1, 0x66, v1
	s_delay_alu instid0(VALU_DEP_1) | instskip(NEXT) | instid1(VALU_DEP_1)
	v_sub_nc_u16 v0, v0, v1
	v_and_b32_e32 v169, 0xffff, v0
	v_cmp_gt_u16_e32 vcc_lo, 54, v0
	s_delay_alu instid0(VALU_DEP_2) | instskip(SKIP_1) | instid1(SALU_CYCLE_1)
	v_lshlrev_b32_e32 v168, 4, v169
	s_mov_b32 s3, exec_lo
	s_and_b32 s2, s3, vcc_lo
	scratch_store_b32 off, v169, off offset:8 ; 4-byte Folded Spill
	s_mov_b32 exec_lo, s2
	s_cbranch_execz .LBB0_3
; %bb.2:
	scratch_load_b64 v[0:1], off, off       ; 8-byte Folded Reload
	s_load_b64 s[4:5], s[0:1], 0x18
	s_wait_kmcnt 0x0
	s_load_b128 s[4:7], s[4:5], 0x0
	s_wait_kmcnt 0x0
	v_mad_co_u64_u32 v[32:33], null, s4, v169, 0
	s_wait_loadcnt 0x0
	s_delay_alu instid0(VALU_DEP_1) | instskip(NEXT) | instid1(VALU_DEP_1)
	v_dual_mov_b32 v1, v33 :: v_dual_mov_b32 v2, v0
	v_mad_co_u64_u32 v[16:17], null, s6, v2, 0
	s_delay_alu instid0(VALU_DEP_1) | instskip(NEXT) | instid1(VALU_DEP_1)
	v_mov_b32_e32 v0, v17
	v_mad_co_u64_u32 v[2:3], null, s7, v2, v[0:1]
	s_delay_alu instid0(VALU_DEP_1)
	v_mov_b32_e32 v17, v2
	v_mad_co_u64_u32 v[18:19], null, s5, v169, v[1:2]
	s_mul_u64 s[4:5], s[4:5], 0x360
	s_clause 0x3
	global_load_b128 v[0:3], v168, s[8:9]
	global_load_b128 v[4:7], v168, s[8:9] offset:864
	global_load_b128 v[8:11], v168, s[8:9] offset:1728
	global_load_b128 v[12:15], v168, s[8:9] offset:2592
	v_lshlrev_b64_e32 v[34:35], 4, v[16:17]
	v_mov_b32_e32 v33, v18
	s_clause 0x3
	global_load_b128 v[16:19], v168, s[8:9] offset:3456
	global_load_b128 v[20:23], v168, s[8:9] offset:4320
	;; [unrolled: 1-line block ×4, first 2 shown]
	v_add_co_u32 v42, s2, s10, v34
	s_delay_alu instid0(VALU_DEP_1)
	v_add_co_ci_u32_e64 v43, s2, s11, v35, s2
	v_lshlrev_b64_e32 v[40:41], 4, v[32:33]
	s_clause 0x1
	global_load_b128 v[32:35], v168, s[8:9] offset:6912
	global_load_b128 v[36:39], v168, s[8:9] offset:7776
	v_add_co_u32 v56, s2, v42, v40
	s_wait_alu 0xf1ff
	v_add_co_ci_u32_e64 v57, s2, v43, v41, s2
	s_clause 0x1
	global_load_b128 v[40:43], v168, s[8:9] offset:8640
	global_load_b128 v[44:47], v168, s[8:9] offset:9504
	s_wait_alu 0xfffe
	v_add_co_u32 v60, s2, v56, s4
	s_wait_alu 0xf1ff
	v_add_co_ci_u32_e64 v61, s2, s5, v57, s2
	s_clause 0x1
	global_load_b128 v[48:51], v168, s[8:9] offset:10368
	global_load_b128 v[52:55], v168, s[8:9] offset:11232
	v_add_co_u32 v64, s2, v60, s4
	s_wait_alu 0xf1ff
	v_add_co_ci_u32_e64 v65, s2, s5, v61, s2
	s_clause 0x1
	global_load_b128 v[56:59], v[56:57], off
	global_load_b128 v[60:63], v[60:61], off
	v_add_co_u32 v68, s2, v64, s4
	s_wait_alu 0xf1ff
	v_add_co_ci_u32_e64 v69, s2, s5, v65, s2
	s_delay_alu instid0(VALU_DEP_2) | instskip(SKIP_1) | instid1(VALU_DEP_2)
	v_add_co_u32 v72, s2, v68, s4
	s_wait_alu 0xf1ff
	v_add_co_ci_u32_e64 v73, s2, s5, v69, s2
	s_clause 0x1
	global_load_b128 v[64:67], v[64:65], off
	global_load_b128 v[68:71], v[68:69], off
	v_add_co_u32 v76, s2, v72, s4
	s_wait_alu 0xf1ff
	v_add_co_ci_u32_e64 v77, s2, s5, v73, s2
	global_load_b128 v[72:75], v[72:73], off
	v_add_co_u32 v80, s2, v76, s4
	s_wait_alu 0xf1ff
	v_add_co_ci_u32_e64 v81, s2, s5, v77, s2
	;; [unrolled: 4-line block ×12, first 2 shown]
	s_clause 0x1
	global_load_b128 v[116:119], v168, s[8:9] offset:12096
	global_load_b128 v[120:123], v168, s[8:9] offset:12960
	global_load_b128 v[124:127], v[124:125], off
	global_load_b128 v[128:131], v168, s[8:9] offset:13824
	global_load_b128 v[132:135], v[132:133], off
	s_wait_loadcnt 0x13
	v_mul_f64_e32 v[136:137], v[58:59], v[2:3]
	v_mul_f64_e32 v[2:3], v[56:57], v[2:3]
	s_wait_loadcnt 0x12
	v_mul_f64_e32 v[138:139], v[62:63], v[6:7]
	v_mul_f64_e32 v[6:7], v[60:61], v[6:7]
	;; [unrolled: 3-line block ×14, first 2 shown]
	v_fma_f64 v[54:55], v[56:57], v[0:1], v[136:137]
	v_fma_f64 v[56:57], v[58:59], v[0:1], -v[2:3]
	v_fma_f64 v[2:3], v[62:63], v[4:5], -v[6:7]
	v_fma_f64 v[0:1], v[60:61], v[4:5], v[138:139]
	s_wait_loadcnt 0x4
	v_mul_f64_e32 v[166:167], v[114:115], v[118:119]
	v_mul_f64_e32 v[118:119], v[112:113], v[118:119]
	s_wait_loadcnt 0x2
	v_mul_f64_e32 v[169:170], v[126:127], v[122:123]
	v_mul_f64_e32 v[122:123], v[124:125], v[122:123]
	;; [unrolled: 3-line block ×3, first 2 shown]
	v_fma_f64 v[4:5], v[64:65], v[8:9], v[140:141]
	v_fma_f64 v[6:7], v[66:67], v[8:9], -v[10:11]
	v_fma_f64 v[8:9], v[68:69], v[12:13], v[142:143]
	v_fma_f64 v[10:11], v[70:71], v[12:13], -v[14:15]
	v_fma_f64 v[12:13], v[72:73], v[16:17], v[144:145]
	v_fma_f64 v[14:15], v[74:75], v[16:17], -v[18:19]
	v_fma_f64 v[16:17], v[76:77], v[20:21], v[146:147]
	v_fma_f64 v[18:19], v[78:79], v[20:21], -v[22:23]
	v_fma_f64 v[20:21], v[80:81], v[24:25], v[148:149]
	v_fma_f64 v[22:23], v[82:83], v[24:25], -v[26:27]
	v_fma_f64 v[24:25], v[84:85], v[28:29], v[150:151]
	v_fma_f64 v[26:27], v[86:87], v[28:29], -v[30:31]
	v_fma_f64 v[28:29], v[88:89], v[32:33], v[152:153]
	v_fma_f64 v[30:31], v[90:91], v[32:33], -v[34:35]
	v_fma_f64 v[32:33], v[92:93], v[36:37], v[154:155]
	v_fma_f64 v[34:35], v[94:95], v[36:37], -v[38:39]
	v_fma_f64 v[36:37], v[96:97], v[40:41], v[156:157]
	v_fma_f64 v[38:39], v[98:99], v[40:41], -v[42:43]
	v_fma_f64 v[40:41], v[100:101], v[44:45], v[158:159]
	v_fma_f64 v[42:43], v[102:103], v[44:45], -v[46:47]
	v_fma_f64 v[44:45], v[104:105], v[48:49], v[160:161]
	v_fma_f64 v[46:47], v[106:107], v[48:49], -v[50:51]
	v_fma_f64 v[48:49], v[108:109], v[52:53], v[162:163]
	v_fma_f64 v[50:51], v[110:111], v[52:53], -v[164:165]
	v_fma_f64 v[58:59], v[112:113], v[116:117], v[166:167]
	v_fma_f64 v[60:61], v[114:115], v[116:117], -v[118:119]
	v_fma_f64 v[62:63], v[124:125], v[120:121], v[169:170]
	scratch_load_b32 v169, off, off offset:8 ; 4-byte Folded Reload
	v_fma_f64 v[64:65], v[126:127], v[120:121], -v[122:123]
	v_fma_f64 v[66:67], v[132:133], v[128:129], v[171:172]
	v_fma_f64 v[68:69], v[134:135], v[128:129], -v[130:131]
	ds_store_b128 v168, v[54:57]
	ds_store_b128 v168, v[0:3] offset:864
	ds_store_b128 v168, v[4:7] offset:1728
	;; [unrolled: 1-line block ×16, first 2 shown]
.LBB0_3:
	s_or_b32 exec_lo, exec_lo, s3
	s_clause 0x1
	s_load_b64 s[4:5], s[0:1], 0x20
	s_load_b64 s[2:3], s[0:1], 0x8
	global_wb scope:SCOPE_SE
	s_wait_storecnt 0x0
	s_wait_loadcnt_dscnt 0x0
	s_wait_kmcnt 0x0
	s_barrier_signal -1
	s_barrier_wait -1
	global_inv scope:SCOPE_SE
                                        ; implicit-def: $vgpr28_vgpr29
                                        ; implicit-def: $vgpr48_vgpr49
                                        ; implicit-def: $vgpr52_vgpr53
                                        ; implicit-def: $vgpr56_vgpr57
                                        ; implicit-def: $vgpr60_vgpr61
                                        ; implicit-def: $vgpr64_vgpr65
                                        ; implicit-def: $vgpr68_vgpr69
                                        ; implicit-def: $vgpr72_vgpr73
                                        ; implicit-def: $vgpr84_vgpr85
                                        ; implicit-def: $vgpr88_vgpr89
                                        ; implicit-def: $vgpr92_vgpr93
                                        ; implicit-def: $vgpr96_vgpr97
                                        ; implicit-def: $vgpr76_vgpr77
                                        ; implicit-def: $vgpr44_vgpr45
                                        ; implicit-def: $vgpr40_vgpr41
                                        ; implicit-def: $vgpr36_vgpr37
                                        ; implicit-def: $vgpr32_vgpr33
	s_and_saveexec_b32 s0, vcc_lo
	s_cbranch_execz .LBB0_5
; %bb.4:
	ds_load_b128 v[28:31], v168
	ds_load_b128 v[48:51], v168 offset:864
	ds_load_b128 v[52:55], v168 offset:1728
	;; [unrolled: 1-line block ×16, first 2 shown]
.LBB0_5:
	s_wait_alu 0xfffe
	s_or_b32 exec_lo, exec_lo, s0
	s_wait_dscnt 0x0
	v_add_f64_e64 v[80:81], v[50:51], -v[34:35]
	v_add_f64_e64 v[82:83], v[54:55], -v[38:39]
	s_mov_b32 s24, 0x5d8e7cdc
	s_mov_b32 s26, 0x2a9d6da3
	;; [unrolled: 1-line block ×4, first 2 shown]
	v_add_f64_e32 v[130:131], v[48:49], v[32:33]
	v_add_f64_e64 v[104:105], v[52:53], -v[36:37]
	s_mov_b32 s0, 0x370991
	s_mov_b32 s38, 0x4363dd80
	;; [unrolled: 1-line block ×6, first 2 shown]
	v_add_f64_e32 v[102:103], v[52:53], v[36:37]
	s_mov_b32 s6, 0x75d4884
	s_mov_b32 s7, 0x3fe7a5f6
	v_add_f64_e64 v[100:101], v[48:49], -v[32:33]
	v_add_f64_e32 v[162:163], v[50:51], v[34:35]
	v_add_f64_e32 v[106:107], v[54:55], v[38:39]
	v_add_f64_e64 v[108:109], v[58:59], -v[42:43]
	s_mov_b32 s34, 0x7c9e640b
	s_mov_b32 s35, 0xbfeca52d
	v_add_f64_e32 v[110:111], v[56:57], v[40:41]
	s_mov_b32 s10, 0x2b2883cd
	s_mov_b32 s30, 0xeb564b22
	;; [unrolled: 1-line block ×4, first 2 shown]
	v_add_f64_e64 v[236:237], v[56:57], -v[40:41]
	v_add_f64_e32 v[118:119], v[58:59], v[42:43]
	s_mov_b32 s36, 0x6c9a05f6
	s_mov_b32 s37, 0xbfe9895b
	v_add_f64_e64 v[242:243], v[62:63], -v[46:47]
	v_add_f64_e32 v[114:115], v[60:61], v[44:45]
	s_mov_b32 s14, 0x3259b75e
	s_mov_b32 s15, 0x3fb79ee6
	v_add_f64_e64 v[244:245], v[60:61], -v[44:45]
	v_add_f64_e32 v[126:127], v[62:63], v[46:47]
	v_mul_f64_e32 v[0:1], s[24:25], v[80:81]
	v_mul_f64_e32 v[2:3], s[26:27], v[82:83]
	v_mul_f64_e32 v[18:19], s[50:51], v[82:83]
	v_mul_f64_e32 v[6:7], s[30:31], v[82:83]
	v_mul_f64_e32 v[10:11], s[36:37], v[82:83]
	v_add_f64_e64 v[248:249], v[66:67], -v[78:79]
	s_mov_b32 s28, 0x923c349f
	v_mul_f64_e32 v[4:5], s[26:27], v[104:105]
	v_mul_f64_e32 v[8:9], s[30:31], v[104:105]
	;; [unrolled: 1-line block ×3, first 2 shown]
	s_mov_b32 s29, 0xbfeec746
	v_add_f64_e32 v[122:123], v[64:65], v[76:77]
	s_mov_b32 s16, 0xc61f0d01
	s_mov_b32 s40, 0xacd6c6b4
	;; [unrolled: 1-line block ×4, first 2 shown]
	v_add_f64_e64 v[250:251], v[64:65], -v[76:77]
	v_mul_f64_e32 v[14:15], s[40:41], v[82:83]
	v_add_f64_e32 v[142:143], v[66:67], v[78:79]
	v_add_f64_e64 v[254:255], v[70:71], -v[98:99]
	v_mul_f64_e32 v[20:21], s[50:51], v[104:105]
	v_add_f64_e32 v[134:135], v[68:69], v[96:97]
	s_mov_b32 s18, 0x6ed5f1bb
	s_mov_b32 s19, 0xbfe348c8
	v_add_f64_e64 v[124:125], v[68:69], -v[96:97]
	v_mul_f64_e32 v[16:17], s[40:41], v[104:105]
	v_add_f64_e32 v[146:147], v[70:71], v[98:99]
	s_mov_b32 s43, 0x3feca52d
	s_mov_b32 s42, s34
	v_add_f64_e64 v[128:129], v[74:75], -v[94:95]
	v_mul_f64_e32 v[26:27], s[42:43], v[82:83]
	v_add_f64_e32 v[138:139], v[72:73], v[92:93]
	s_mov_b32 s20, 0x910ea3b9
	s_mov_b32 s21, 0xbfeb34fa
	s_mov_b32 s49, 0x3feec746
	s_mov_b32 s48, s28
	v_add_f64_e64 v[132:133], v[72:73], -v[92:93]
	v_mul_f64_e32 v[22:23], s[48:49], v[82:83]
	v_add_f64_e32 v[154:155], v[74:75], v[94:95]
	s_clause 0x2
	scratch_store_b64 off, v[2:3], off offset:12
	scratch_store_b64 off, v[0:1], off offset:120
	;; [unrolled: 1-line block ×3, first 2 shown]
	s_wait_alu 0xfffe
	v_fma_f64 v[0:1], v[130:131], s[0:1], v[0:1]
	v_fma_f64 v[2:3], v[102:103], s[6:7], v[2:3]
	v_add_f64_e64 v[136:137], v[86:87], -v[90:91]
	scratch_store_b64 off, v[4:5], off offset:28 ; 8-byte Folded Spill
	v_fma_f64 v[4:5], v[106:107], s[6:7], -v[4:5]
	v_add_f64_e32 v[150:151], v[84:85], v[88:89]
	s_mov_b32 s22, 0x7faef3
	s_mov_b32 s23, 0xbfef7484
	v_add_f64_e64 v[140:141], v[84:85], -v[88:89]
	v_mul_f64_e32 v[24:25], s[48:49], v[104:105]
	v_add_f64_e32 v[158:159], v[86:87], v[90:91]
	v_mul_f64_e32 v[176:177], s[26:27], v[80:81]
	v_mul_f64_e32 v[202:203], s[26:27], v[100:101]
	s_mov_b32 s45, 0x3fd71e95
	s_mov_b32 s44, s24
	v_mul_f64_e32 v[214:215], s[34:35], v[80:81]
	v_mul_f64_e32 v[216:217], s[34:35], v[100:101]
	s_mov_b32 s47, 0x3fc7851a
	s_mov_b32 s46, s40
	v_mul_f64_e32 v[218:219], s[30:31], v[80:81]
	v_mul_f64_e32 v[156:157], s[24:25], v[124:125]
	v_mul_f64_e32 v[220:221], s[30:31], v[100:101]
	v_mul_f64_e32 v[178:179], s[38:39], v[124:125]
	s_mov_b32 s53, 0x3fe9895b
	s_mov_b32 s52, s36
	v_mul_f64_e32 v[222:223], s[28:29], v[80:81]
	v_fma_f64 v[18:19], v[102:103], s[20:21], v[18:19]
	v_mul_f64_e32 v[224:225], s[28:29], v[100:101]
	v_mul_f64_e32 v[152:153], s[34:35], v[244:245]
	;; [unrolled: 1-line block ×11, first 2 shown]
	v_add_f64_e32 v[0:1], v[28:29], v[0:1]
	v_mul_f64_e32 v[180:181], s[40:41], v[132:133]
	v_mul_f64_e32 v[232:233], s[38:39], v[80:81]
	;; [unrolled: 1-line block ×19, first 2 shown]
	scratch_store_b64 off, v[6:7], off offset:200 ; 8-byte Folded Spill
	v_fma_f64 v[6:7], v[102:103], s[14:15], v[6:7]
	scratch_store_b64 off, v[8:9], off offset:216 ; 8-byte Folded Spill
	v_fma_f64 v[8:9], v[106:107], s[14:15], -v[8:9]
	scratch_store_b64 off, v[10:11], off offset:224 ; 8-byte Folded Spill
	v_fma_f64 v[10:11], v[102:103], s[18:19], v[10:11]
	scratch_store_b64 off, v[12:13], off offset:296 ; 8-byte Folded Spill
	v_fma_f64 v[12:13], v[106:107], s[18:19], -v[12:13]
	scratch_store_b64 off, v[16:17], off offset:376 ; 8-byte Folded Spill
	v_fma_f64 v[16:17], v[106:107], s[22:23], -v[16:17]
	scratch_store_b64 off, v[14:15], off offset:280 ; 8-byte Folded Spill
	v_fma_f64 v[14:15], v[102:103], s[22:23], v[14:15]
	scratch_store_b64 off, v[20:21], off offset:472 ; 8-byte Folded Spill
	v_fma_f64 v[20:21], v[106:107], s[20:21], -v[20:21]
	scratch_store_b64 off, v[22:23], off offset:416 ; 8-byte Folded Spill
	v_fma_f64 v[22:23], v[102:103], s[16:17], v[22:23]
	scratch_store_b64 off, v[24:25], off offset:584 ; 8-byte Folded Spill
	v_fma_f64 v[24:25], v[106:107], s[16:17], -v[24:25]
	v_add_f64_e32 v[0:1], v[2:3], v[0:1]
	v_mul_f64_e32 v[2:3], s[24:25], v[100:101]
	scratch_store_b64 off, v[26:27], off offset:512 ; 8-byte Folded Spill
	v_fma_f64 v[26:27], v[102:103], s[10:11], v[26:27]
	v_fma_f64 v[112:113], v[106:107], s[10:11], -v[148:149]
	v_fma_f64 v[82:83], v[102:103], s[0:1], v[230:231]
	v_fma_f64 v[100:101], v[106:107], s[0:1], -v[238:239]
	scratch_store_b64 off, v[2:3], off offset:192 ; 8-byte Folded Spill
	v_fma_f64 v[2:3], v[162:163], s[0:1], -v[2:3]
	s_delay_alu instid0(VALU_DEP_1) | instskip(NEXT) | instid1(VALU_DEP_1)
	v_add_f64_e32 v[2:3], v[30:31], v[2:3]
	v_add_f64_e32 v[2:3], v[4:5], v[2:3]
	v_mul_f64_e32 v[4:5], s[34:35], v[108:109]
	scratch_store_b64 off, v[4:5], off offset:44 ; 8-byte Folded Spill
	v_fma_f64 v[4:5], v[110:111], s[10:11], v[4:5]
	s_delay_alu instid0(VALU_DEP_1) | instskip(SKIP_3) | instid1(VALU_DEP_1)
	v_add_f64_e32 v[0:1], v[4:5], v[0:1]
	v_mul_f64_e32 v[4:5], s[34:35], v[236:237]
	scratch_store_b64 off, v[4:5], off offset:80 ; 8-byte Folded Spill
	v_fma_f64 v[4:5], v[118:119], s[10:11], -v[4:5]
	v_add_f64_e32 v[2:3], v[4:5], v[2:3]
	v_mul_f64_e32 v[4:5], s[30:31], v[242:243]
	scratch_store_b64 off, v[4:5], off offset:64 ; 8-byte Folded Spill
	v_fma_f64 v[4:5], v[114:115], s[14:15], v[4:5]
	s_delay_alu instid0(VALU_DEP_1) | instskip(SKIP_3) | instid1(VALU_DEP_1)
	v_add_f64_e32 v[0:1], v[4:5], v[0:1]
	v_mul_f64_e32 v[4:5], s[30:31], v[244:245]
	scratch_store_b64 off, v[4:5], off offset:112 ; 8-byte Folded Spill
	v_fma_f64 v[4:5], v[126:127], s[14:15], -v[4:5]
	;; [unrolled: 9-line block ×6, first 2 shown]
	v_add_f64_e32 v[2:3], v[4:5], v[2:3]
	v_fma_f64 v[4:5], v[130:131], s[6:7], v[176:177]
	s_delay_alu instid0(VALU_DEP_1) | instskip(NEXT) | instid1(VALU_DEP_1)
	v_add_f64_e32 v[4:5], v[28:29], v[4:5]
	v_add_f64_e32 v[4:5], v[6:7], v[4:5]
	v_fma_f64 v[6:7], v[162:163], s[6:7], -v[202:203]
	s_delay_alu instid0(VALU_DEP_1) | instskip(NEXT) | instid1(VALU_DEP_1)
	v_add_f64_e32 v[6:7], v[30:31], v[6:7]
	v_add_f64_e32 v[6:7], v[8:9], v[6:7]
	v_mul_f64_e32 v[8:9], s[36:37], v[108:109]
	scratch_store_b64 off, v[8:9], off offset:208 ; 8-byte Folded Spill
	v_fma_f64 v[8:9], v[110:111], s[18:19], v[8:9]
	s_delay_alu instid0(VALU_DEP_1) | instskip(SKIP_3) | instid1(VALU_DEP_1)
	v_add_f64_e32 v[4:5], v[8:9], v[4:5]
	v_mul_f64_e32 v[8:9], s[36:37], v[236:237]
	scratch_store_b64 off, v[8:9], off offset:240 ; 8-byte Folded Spill
	v_fma_f64 v[8:9], v[118:119], s[18:19], -v[8:9]
	v_add_f64_e32 v[6:7], v[8:9], v[6:7]
	v_mul_f64_e32 v[8:9], s[40:41], v[242:243]
	scratch_store_b64 off, v[8:9], off offset:232 ; 8-byte Folded Spill
	v_fma_f64 v[8:9], v[114:115], s[22:23], v[8:9]
	s_delay_alu instid0(VALU_DEP_1) | instskip(SKIP_3) | instid1(VALU_DEP_1)
	v_add_f64_e32 v[4:5], v[8:9], v[4:5]
	v_mul_f64_e32 v[8:9], s[40:41], v[244:245]
	scratch_store_b64 off, v[8:9], off offset:312 ; 8-byte Folded Spill
	v_fma_f64 v[8:9], v[126:127], s[22:23], -v[8:9]
	;; [unrolled: 9-line block ×6, first 2 shown]
	v_add_f64_e32 v[6:7], v[8:9], v[6:7]
	v_fma_f64 v[8:9], v[130:131], s[10:11], v[214:215]
	s_delay_alu instid0(VALU_DEP_1) | instskip(NEXT) | instid1(VALU_DEP_1)
	v_add_f64_e32 v[8:9], v[28:29], v[8:9]
	v_add_f64_e32 v[8:9], v[10:11], v[8:9]
	v_fma_f64 v[10:11], v[162:163], s[10:11], -v[216:217]
	s_delay_alu instid0(VALU_DEP_1) | instskip(NEXT) | instid1(VALU_DEP_1)
	v_add_f64_e32 v[10:11], v[30:31], v[10:11]
	v_add_f64_e32 v[10:11], v[12:13], v[10:11]
	v_mul_f64_e32 v[12:13], s[46:47], v[108:109]
	scratch_store_b64 off, v[12:13], off offset:248 ; 8-byte Folded Spill
	v_fma_f64 v[12:13], v[110:111], s[22:23], v[12:13]
	s_delay_alu instid0(VALU_DEP_1)
	v_add_f64_e32 v[8:9], v[12:13], v[8:9]
	v_mul_f64_e32 v[12:13], s[46:47], v[236:237]
	s_mov_b32 s47, 0x3fe58eea
	s_mov_b32 s46, s26
	s_wait_alu 0xfffe
	v_mul_f64_e32 v[182:183], s[46:47], v[128:129]
	v_mul_f64_e32 v[196:197], s[46:47], v[132:133]
	;; [unrolled: 1-line block ×3, first 2 shown]
	scratch_store_b64 off, v[12:13], off offset:368 ; 8-byte Folded Spill
	v_fma_f64 v[12:13], v[118:119], s[22:23], -v[12:13]
	s_delay_alu instid0(VALU_DEP_1) | instskip(SKIP_3) | instid1(VALU_DEP_1)
	v_add_f64_e32 v[10:11], v[12:13], v[10:11]
	v_mul_f64_e32 v[12:13], s[48:49], v[242:243]
	scratch_store_b64 off, v[12:13], off offset:288 ; 8-byte Folded Spill
	v_fma_f64 v[12:13], v[114:115], s[16:17], v[12:13]
	v_add_f64_e32 v[8:9], v[12:13], v[8:9]
	v_mul_f64_e32 v[12:13], s[48:49], v[244:245]
	scratch_store_b64 off, v[12:13], off offset:440 ; 8-byte Folded Spill
	v_fma_f64 v[12:13], v[126:127], s[16:17], -v[12:13]
	s_delay_alu instid0(VALU_DEP_1) | instskip(SKIP_3) | instid1(VALU_DEP_1)
	v_add_f64_e32 v[10:11], v[12:13], v[10:11]
	v_mul_f64_e32 v[12:13], s[46:47], v[248:249]
	scratch_store_b64 off, v[12:13], off offset:408 ; 8-byte Folded Spill
	v_fma_f64 v[12:13], v[122:123], s[6:7], v[12:13]
	v_add_f64_e32 v[8:9], v[12:13], v[8:9]
	v_mul_f64_e32 v[12:13], s[46:47], v[250:251]
	scratch_store_b64 off, v[12:13], off offset:576 ; 8-byte Folded Spill
	v_fma_f64 v[12:13], v[142:143], s[6:7], -v[12:13]
	s_delay_alu instid0(VALU_DEP_1) | instskip(SKIP_3) | instid1(VALU_DEP_1)
	v_add_f64_e32 v[10:11], v[12:13], v[10:11]
	v_mul_f64_e32 v[12:13], s[24:25], v[254:255]
	scratch_store_b64 off, v[12:13], off offset:504 ; 8-byte Folded Spill
	v_fma_f64 v[12:13], v[134:135], s[0:1], v[12:13]
	v_add_f64_e32 v[8:9], v[12:13], v[8:9]
	v_fma_f64 v[12:13], v[146:147], s[0:1], -v[156:157]
	s_delay_alu instid0(VALU_DEP_1) | instskip(SKIP_3) | instid1(VALU_DEP_1)
	v_add_f64_e32 v[10:11], v[12:13], v[10:11]
	v_mul_f64_e32 v[12:13], s[30:31], v[128:129]
	scratch_store_b64 off, v[12:13], off offset:392 ; 8-byte Folded Spill
	v_fma_f64 v[12:13], v[138:139], s[14:15], v[12:13]
	v_add_f64_e32 v[8:9], v[12:13], v[8:9]
	v_mul_f64_e32 v[12:13], s[30:31], v[132:133]
	scratch_store_b64 off, v[12:13], off offset:448 ; 8-byte Folded Spill
	v_fma_f64 v[12:13], v[154:155], s[14:15], -v[12:13]
	s_delay_alu instid0(VALU_DEP_1) | instskip(SKIP_3) | instid1(VALU_DEP_1)
	v_add_f64_e32 v[10:11], v[12:13], v[10:11]
	v_mul_f64_e32 v[12:13], s[38:39], v[136:137]
	scratch_store_b64 off, v[12:13], off offset:360 ; 8-byte Folded Spill
	v_fma_f64 v[12:13], v[150:151], s[20:21], v[12:13]
	v_add_f64_e32 v[8:9], v[12:13], v[8:9]
	v_mul_f64_e32 v[12:13], s[38:39], v[140:141]
	scratch_store_b64 off, v[12:13], off offset:432 ; 8-byte Folded Spill
	v_fma_f64 v[12:13], v[158:159], s[20:21], -v[12:13]
	s_delay_alu instid0(VALU_DEP_1) | instskip(SKIP_1) | instid1(VALU_DEP_1)
	v_add_f64_e32 v[10:11], v[12:13], v[10:11]
	v_fma_f64 v[12:13], v[130:131], s[14:15], v[218:219]
	v_add_f64_e32 v[12:13], v[28:29], v[12:13]
	s_delay_alu instid0(VALU_DEP_1) | instskip(SKIP_1) | instid1(VALU_DEP_1)
	v_add_f64_e32 v[12:13], v[14:15], v[12:13]
	v_fma_f64 v[14:15], v[162:163], s[14:15], -v[220:221]
	v_add_f64_e32 v[14:15], v[30:31], v[14:15]
	s_delay_alu instid0(VALU_DEP_1) | instskip(SKIP_3) | instid1(VALU_DEP_1)
	v_add_f64_e32 v[14:15], v[16:17], v[14:15]
	v_mul_f64_e32 v[16:17], s[48:49], v[108:109]
	scratch_store_b64 off, v[16:17], off offset:328 ; 8-byte Folded Spill
	v_fma_f64 v[16:17], v[110:111], s[16:17], v[16:17]
	v_add_f64_e32 v[12:13], v[16:17], v[12:13]
	v_mul_f64_e32 v[16:17], s[48:49], v[236:237]
	scratch_store_b64 off, v[16:17], off offset:464 ; 8-byte Folded Spill
	v_fma_f64 v[16:17], v[118:119], s[16:17], -v[16:17]
	s_delay_alu instid0(VALU_DEP_1) | instskip(SKIP_3) | instid1(VALU_DEP_1)
	v_add_f64_e32 v[14:15], v[16:17], v[14:15]
	v_mul_f64_e32 v[16:17], s[44:45], v[242:243]
	scratch_store_b64 off, v[16:17], off offset:352 ; 8-byte Folded Spill
	v_fma_f64 v[16:17], v[114:115], s[0:1], v[16:17]
	v_add_f64_e32 v[12:13], v[16:17], v[12:13]
	v_mul_f64_e32 v[16:17], s[44:45], v[244:245]
	v_mul_f64_e32 v[244:245], s[28:29], v[128:129]
	scratch_store_b64 off, v[16:17], off offset:544 ; 8-byte Folded Spill
	v_fma_f64 v[16:17], v[126:127], s[0:1], -v[16:17]
	s_delay_alu instid0(VALU_DEP_1) | instskip(SKIP_3) | instid1(VALU_DEP_1)
	v_add_f64_e32 v[14:15], v[16:17], v[14:15]
	v_mul_f64_e32 v[16:17], s[34:35], v[248:249]
	scratch_store_b64 off, v[16:17], off offset:496 ; 8-byte Folded Spill
	v_fma_f64 v[16:17], v[122:123], s[10:11], v[16:17]
	v_add_f64_e32 v[12:13], v[16:17], v[12:13]
	v_mul_f64_e32 v[16:17], s[34:35], v[250:251]
	scratch_store_b64 off, v[16:17], off offset:640 ; 8-byte Folded Spill
	v_fma_f64 v[16:17], v[142:143], s[10:11], -v[16:17]
	s_delay_alu instid0(VALU_DEP_1) | instskip(SKIP_3) | instid1(VALU_DEP_1)
	v_add_f64_e32 v[14:15], v[16:17], v[14:15]
	v_mul_f64_e32 v[16:17], s[38:39], v[254:255]
	scratch_store_b64 off, v[16:17], off offset:600 ; 8-byte Folded Spill
	v_fma_f64 v[16:17], v[134:135], s[20:21], v[16:17]
	v_add_f64_e32 v[12:13], v[16:17], v[12:13]
	v_fma_f64 v[16:17], v[146:147], s[20:21], -v[178:179]
	s_delay_alu instid0(VALU_DEP_1) | instskip(SKIP_3) | instid1(VALU_DEP_1)
	v_add_f64_e32 v[14:15], v[16:17], v[14:15]
	v_mul_f64_e32 v[16:17], s[52:53], v[128:129]
	scratch_store_b64 off, v[16:17], off offset:480 ; 8-byte Folded Spill
	v_fma_f64 v[16:17], v[138:139], s[18:19], v[16:17]
	v_add_f64_e32 v[12:13], v[16:17], v[12:13]
	v_mul_f64_e32 v[16:17], s[52:53], v[132:133]
	scratch_store_b64 off, v[16:17], off offset:552 ; 8-byte Folded Spill
	v_fma_f64 v[16:17], v[154:155], s[18:19], -v[16:17]
	s_delay_alu instid0(VALU_DEP_1) | instskip(SKIP_3) | instid1(VALU_DEP_1)
	v_add_f64_e32 v[14:15], v[16:17], v[14:15]
	v_mul_f64_e32 v[16:17], s[46:47], v[136:137]
	scratch_store_b64 off, v[16:17], off offset:456 ; 8-byte Folded Spill
	v_fma_f64 v[16:17], v[150:151], s[6:7], v[16:17]
	v_add_f64_e32 v[12:13], v[16:17], v[12:13]
	v_mul_f64_e32 v[16:17], s[46:47], v[140:141]
	scratch_store_b64 off, v[16:17], off offset:536 ; 8-byte Folded Spill
	v_fma_f64 v[16:17], v[158:159], s[6:7], -v[16:17]
	s_delay_alu instid0(VALU_DEP_1) | instskip(SKIP_1) | instid1(VALU_DEP_1)
	v_add_f64_e32 v[14:15], v[16:17], v[14:15]
	v_fma_f64 v[16:17], v[130:131], s[16:17], v[222:223]
	v_add_f64_e32 v[16:17], v[28:29], v[16:17]
	s_delay_alu instid0(VALU_DEP_1) | instskip(SKIP_1) | instid1(VALU_DEP_1)
	v_add_f64_e32 v[16:17], v[18:19], v[16:17]
	v_fma_f64 v[18:19], v[162:163], s[16:17], -v[224:225]
	v_add_f64_e32 v[18:19], v[30:31], v[18:19]
	s_delay_alu instid0(VALU_DEP_1) | instskip(SKIP_3) | instid1(VALU_DEP_1)
	v_add_f64_e32 v[18:19], v[20:21], v[18:19]
	v_mul_f64_e32 v[20:21], s[46:47], v[108:109]
	scratch_store_b64 off, v[20:21], off offset:400 ; 8-byte Folded Spill
	v_fma_f64 v[20:21], v[110:111], s[6:7], v[20:21]
	v_add_f64_e32 v[16:17], v[20:21], v[16:17]
	v_mul_f64_e32 v[20:21], s[46:47], v[236:237]
	v_mul_f64_e32 v[236:237], s[46:47], v[242:243]
	scratch_store_b64 off, v[20:21], off offset:568 ; 8-byte Folded Spill
	v_fma_f64 v[20:21], v[118:119], s[6:7], -v[20:21]
	s_delay_alu instid0(VALU_DEP_1)
	v_add_f64_e32 v[18:19], v[20:21], v[18:19]
	v_mul_f64_e32 v[20:21], s[34:35], v[242:243]
	s_mov_b32 s35, 0x3fefdd0d
	s_mov_b32 s34, s30
	s_wait_alu 0xfffe
	v_mul_f64_e32 v[170:171], s[34:35], v[254:255]
	v_mul_f64_e32 v[204:205], s[34:35], v[124:125]
	v_mul_f64_e32 v[120:121], s[34:35], v[248:249]
	v_mul_f64_e32 v[200:201], s[34:35], v[250:251]
	v_mul_f64_e32 v[254:255], s[42:43], v[254:255]
	scratch_store_b64 off, v[20:21], off offset:424 ; 8-byte Folded Spill
	v_fma_f64 v[20:21], v[114:115], s[10:11], v[20:21]
	s_delay_alu instid0(VALU_DEP_1) | instskip(SKIP_1) | instid1(VALU_DEP_1)
	v_add_f64_e32 v[16:17], v[20:21], v[16:17]
	v_fma_f64 v[20:21], v[126:127], s[10:11], -v[152:153]
	v_add_f64_e32 v[18:19], v[20:21], v[18:19]
	v_mul_f64_e32 v[20:21], s[40:41], v[248:249]
	scratch_store_b64 off, v[20:21], off offset:616 ; 8-byte Folded Spill
	v_fma_f64 v[20:21], v[122:123], s[22:23], v[20:21]
	s_delay_alu instid0(VALU_DEP_1) | instskip(SKIP_1) | instid1(VALU_DEP_1)
	v_add_f64_e32 v[16:17], v[20:21], v[16:17]
	v_fma_f64 v[20:21], v[142:143], s[22:23], -v[186:187]
	v_add_f64_e32 v[18:19], v[20:21], v[18:19]
	v_fma_f64 v[20:21], v[134:135], s[14:15], v[170:171]
	s_delay_alu instid0(VALU_DEP_1) | instskip(SKIP_1) | instid1(VALU_DEP_1)
	v_add_f64_e32 v[16:17], v[20:21], v[16:17]
	v_fma_f64 v[20:21], v[146:147], s[14:15], -v[204:205]
	v_add_f64_e32 v[18:19], v[20:21], v[18:19]
	v_mul_f64_e32 v[20:21], s[24:25], v[128:129]
	scratch_store_b64 off, v[20:21], off offset:592 ; 8-byte Folded Spill
	v_fma_f64 v[20:21], v[138:139], s[0:1], v[20:21]
	s_delay_alu instid0(VALU_DEP_1) | instskip(SKIP_1) | instid1(VALU_DEP_1)
	v_add_f64_e32 v[16:17], v[20:21], v[16:17]
	v_fma_f64 v[20:21], v[154:155], s[0:1], -v[160:161]
	v_add_f64_e32 v[18:19], v[20:21], v[18:19]
	v_mul_f64_e32 v[20:21], s[36:37], v[136:137]
	scratch_store_b64 off, v[20:21], off offset:560 ; 8-byte Folded Spill
	v_fma_f64 v[20:21], v[150:151], s[18:19], v[20:21]
	s_delay_alu instid0(VALU_DEP_1) | instskip(SKIP_1) | instid1(VALU_DEP_1)
	v_add_f64_e32 v[16:17], v[20:21], v[16:17]
	v_fma_f64 v[20:21], v[158:159], s[18:19], -v[144:145]
	v_add_f64_e32 v[18:19], v[20:21], v[18:19]
	v_fma_f64 v[20:21], v[130:131], s[18:19], v[226:227]
	s_delay_alu instid0(VALU_DEP_1) | instskip(NEXT) | instid1(VALU_DEP_1)
	v_add_f64_e32 v[20:21], v[28:29], v[20:21]
	v_add_f64_e32 v[20:21], v[22:23], v[20:21]
	v_fma_f64 v[22:23], v[162:163], s[18:19], -v[228:229]
	s_delay_alu instid0(VALU_DEP_1) | instskip(NEXT) | instid1(VALU_DEP_1)
	v_add_f64_e32 v[22:23], v[30:31], v[22:23]
	v_add_f64_e32 v[22:23], v[24:25], v[22:23]
	v_mul_f64_e32 v[24:25], s[24:25], v[108:109]
	scratch_store_b64 off, v[24:25], off offset:520 ; 8-byte Folded Spill
	v_fma_f64 v[24:25], v[110:111], s[0:1], v[24:25]
	s_delay_alu instid0(VALU_DEP_1) | instskip(SKIP_1) | instid1(VALU_DEP_1)
	v_add_f64_e32 v[20:21], v[24:25], v[20:21]
	v_fma_f64 v[24:25], v[118:119], s[0:1], -v[166:167]
	v_add_f64_e32 v[22:23], v[24:25], v[22:23]
	v_mul_f64_e32 v[24:25], s[38:39], v[242:243]
	scratch_store_b64 off, v[24:25], off offset:528 ; 8-byte Folded Spill
	v_fma_f64 v[24:25], v[114:115], s[20:21], v[24:25]
	s_delay_alu instid0(VALU_DEP_1) | instskip(SKIP_1) | instid1(VALU_DEP_1)
	v_add_f64_e32 v[20:21], v[24:25], v[20:21]
	v_fma_f64 v[24:25], v[126:127], s[20:21], -v[188:189]
	v_add_f64_e32 v[22:23], v[24:25], v[22:23]
	v_fma_f64 v[24:25], v[122:123], s[14:15], v[120:121]
	s_delay_alu instid0(VALU_DEP_1) | instskip(SKIP_1) | instid1(VALU_DEP_1)
	v_add_f64_e32 v[20:21], v[24:25], v[20:21]
	v_fma_f64 v[24:25], v[142:143], s[14:15], -v[200:201]
	v_add_f64_e32 v[22:23], v[24:25], v[22:23]
	;; [unrolled: 5-line block ×4, first 2 shown]
	v_mul_f64_e32 v[24:25], s[42:43], v[136:137]
	scratch_store_b64 off, v[24:25], off offset:632 ; 8-byte Folded Spill
	v_fma_f64 v[24:25], v[150:151], s[10:11], v[24:25]
	s_delay_alu instid0(VALU_DEP_1) | instskip(SKIP_1) | instid1(VALU_DEP_1)
	v_add_f64_e32 v[20:21], v[24:25], v[20:21]
	v_fma_f64 v[24:25], v[158:159], s[10:11], -v[174:175]
	v_add_f64_e32 v[22:23], v[24:25], v[22:23]
	v_fma_f64 v[24:25], v[130:131], s[20:21], v[232:233]
	s_delay_alu instid0(VALU_DEP_1) | instskip(NEXT) | instid1(VALU_DEP_1)
	v_add_f64_e32 v[24:25], v[28:29], v[24:25]
	v_add_f64_e32 v[24:25], v[26:27], v[24:25]
	v_fma_f64 v[26:27], v[162:163], s[20:21], -v[240:241]
	s_delay_alu instid0(VALU_DEP_1) | instskip(NEXT) | instid1(VALU_DEP_1)
	v_add_f64_e32 v[26:27], v[30:31], v[26:27]
	v_add_f64_e32 v[26:27], v[112:113], v[26:27]
	v_mul_f64_e32 v[112:113], s[30:31], v[108:109]
	scratch_store_b64 off, v[112:113], off offset:608 ; 8-byte Folded Spill
	v_fma_f64 v[112:113], v[110:111], s[14:15], v[112:113]
	s_delay_alu instid0(VALU_DEP_1) | instskip(SKIP_1) | instid1(VALU_DEP_1)
	v_add_f64_e32 v[24:25], v[112:113], v[24:25]
	v_fma_f64 v[112:113], v[118:119], s[14:15], -v[184:185]
	v_add_f64_e32 v[26:27], v[112:113], v[26:27]
	v_mul_f64_e32 v[112:113], s[52:53], v[242:243]
	v_mul_f64_e32 v[242:243], s[34:35], v[136:137]
	scratch_store_b64 off, v[112:113], off offset:624 ; 8-byte Folded Spill
	v_fma_f64 v[112:113], v[114:115], s[18:19], v[112:113]
	global_wb scope:SCOPE_SE
	s_wait_storecnt 0x0
	s_barrier_signal -1
	s_barrier_wait -1
	global_inv scope:SCOPE_SE
	v_add_f64_e32 v[24:25], v[112:113], v[24:25]
	v_fma_f64 v[112:113], v[126:127], s[18:19], -v[198:199]
	s_delay_alu instid0(VALU_DEP_1) | instskip(SKIP_1) | instid1(VALU_DEP_1)
	v_add_f64_e32 v[26:27], v[112:113], v[26:27]
	v_fma_f64 v[112:113], v[122:123], s[0:1], v[190:191]
	v_add_f64_e32 v[24:25], v[112:113], v[24:25]
	v_fma_f64 v[112:113], v[142:143], s[0:1], -v[208:209]
	s_delay_alu instid0(VALU_DEP_1) | instskip(SKIP_1) | instid1(VALU_DEP_1)
	v_add_f64_e32 v[26:27], v[112:113], v[26:27]
	v_fma_f64 v[112:113], v[134:135], s[22:23], v[206:207]
	;; [unrolled: 5-line block ×4, first 2 shown]
	v_add_f64_e32 v[24:25], v[112:113], v[24:25]
	v_fma_f64 v[112:113], v[158:159], s[16:17], -v[194:195]
	s_delay_alu instid0(VALU_DEP_1) | instskip(SKIP_1) | instid1(VALU_DEP_1)
	v_add_f64_e32 v[26:27], v[112:113], v[26:27]
	v_mul_f64_e32 v[112:113], s[40:41], v[80:81]
	v_fma_f64 v[80:81], v[130:131], s[22:23], v[112:113]
	s_delay_alu instid0(VALU_DEP_1) | instskip(NEXT) | instid1(VALU_DEP_1)
	v_add_f64_e32 v[80:81], v[28:29], v[80:81]
	v_add_f64_e32 v[80:81], v[82:83], v[80:81]
	v_fma_f64 v[82:83], v[162:163], s[22:23], -v[116:117]
	s_delay_alu instid0(VALU_DEP_1) | instskip(NEXT) | instid1(VALU_DEP_1)
	v_add_f64_e32 v[82:83], v[30:31], v[82:83]
	v_add_f64_e32 v[82:83], v[100:101], v[82:83]
	v_fma_f64 v[100:101], v[110:111], s[20:21], v[234:235]
	s_delay_alu instid0(VALU_DEP_1) | instskip(SKIP_1) | instid1(VALU_DEP_1)
	v_add_f64_e32 v[80:81], v[100:101], v[80:81]
	v_fma_f64 v[100:101], v[118:119], s[20:21], -v[246:247]
	v_add_f64_e32 v[82:83], v[100:101], v[82:83]
	v_fma_f64 v[100:101], v[114:115], s[6:7], v[236:237]
	s_delay_alu instid0(VALU_DEP_1) | instskip(SKIP_1) | instid1(VALU_DEP_1)
	v_add_f64_e32 v[80:81], v[100:101], v[80:81]
	v_fma_f64 v[100:101], v[126:127], s[6:7], -v[252:253]
	v_add_f64_e32 v[82:83], v[100:101], v[82:83]
	v_mul_f64_e32 v[100:101], s[36:37], v[248:249]
	v_mul_f64_e32 v[248:249], s[34:35], v[140:141]
	s_delay_alu instid0(VALU_DEP_2) | instskip(NEXT) | instid1(VALU_DEP_1)
	v_fma_f64 v[104:105], v[122:123], s[18:19], v[100:101]
	v_add_f64_e32 v[80:81], v[104:105], v[80:81]
	v_mul_f64_e32 v[104:105], s[36:37], v[250:251]
	v_mul_f64_e32 v[250:251], s[28:29], v[132:133]
	s_delay_alu instid0(VALU_DEP_2) | instskip(NEXT) | instid1(VALU_DEP_1)
	v_fma_f64 v[108:109], v[142:143], s[18:19], -v[104:105]
	v_add_f64_e32 v[82:83], v[108:109], v[82:83]
	v_fma_f64 v[108:109], v[134:135], s[10:11], v[254:255]
	s_delay_alu instid0(VALU_DEP_1) | instskip(SKIP_1) | instid1(VALU_DEP_1)
	v_add_f64_e32 v[80:81], v[108:109], v[80:81]
	v_mul_f64_e32 v[108:109], s[42:43], v[124:125]
	v_fma_f64 v[124:125], v[146:147], s[10:11], -v[108:109]
	s_delay_alu instid0(VALU_DEP_1) | instskip(SKIP_1) | instid1(VALU_DEP_1)
	v_add_f64_e32 v[82:83], v[124:125], v[82:83]
	v_fma_f64 v[124:125], v[138:139], s[16:17], v[244:245]
	v_add_f64_e32 v[80:81], v[124:125], v[80:81]
	v_fma_f64 v[124:125], v[154:155], s[16:17], -v[250:251]
	s_delay_alu instid0(VALU_DEP_1) | instskip(SKIP_1) | instid1(VALU_DEP_1)
	v_add_f64_e32 v[82:83], v[124:125], v[82:83]
	v_fma_f64 v[124:125], v[150:151], s[14:15], v[242:243]
	v_add_f64_e32 v[80:81], v[124:125], v[80:81]
	v_fma_f64 v[124:125], v[158:159], s[14:15], -v[248:249]
	s_delay_alu instid0(VALU_DEP_1)
	v_add_f64_e32 v[82:83], v[124:125], v[82:83]
	v_mul_lo_u16 v124, v169, 17
	scratch_store_b32 off, v124, off offset:60 ; 4-byte Folded Spill
	s_and_saveexec_b32 s24, vcc_lo
	s_cbranch_execz .LBB0_7
; %bb.6:
	v_add_f64_e32 v[50:51], v[30:31], v[50:51]
	v_add_f64_e32 v[48:49], v[28:29], v[48:49]
	s_delay_alu instid0(VALU_DEP_2) | instskip(NEXT) | instid1(VALU_DEP_2)
	v_add_f64_e32 v[50:51], v[50:51], v[54:55]
	v_add_f64_e32 v[48:49], v[48:49], v[52:53]
	v_mul_f64_e32 v[52:53], s[14:15], v[162:163]
	v_mul_f64_e32 v[54:55], s[14:15], v[130:131]
	s_delay_alu instid0(VALU_DEP_4) | instskip(NEXT) | instid1(VALU_DEP_4)
	v_add_f64_e32 v[50:51], v[50:51], v[58:59]
	v_add_f64_e32 v[48:49], v[48:49], v[56:57]
	s_delay_alu instid0(VALU_DEP_4)
	v_add_f64_e32 v[52:53], v[220:221], v[52:53]
	v_mul_f64_e32 v[58:59], s[10:11], v[130:131]
	v_mul_f64_e32 v[56:57], s[10:11], v[162:163]
	v_add_f64_e64 v[54:55], v[54:55], -v[218:219]
	v_add_f64_e32 v[50:51], v[50:51], v[62:63]
	v_add_f64_e32 v[48:49], v[48:49], v[60:61]
	v_mul_f64_e32 v[60:61], s[6:7], v[162:163]
	v_add_f64_e64 v[58:59], v[58:59], -v[214:215]
	v_add_f64_e32 v[56:57], v[216:217], v[56:57]
	v_mul_f64_e32 v[62:63], s[6:7], v[130:131]
	v_add_f64_e32 v[50:51], v[50:51], v[66:67]
	v_add_f64_e32 v[48:49], v[48:49], v[64:65]
	scratch_load_b64 v[66:67], off, off offset:192 th:TH_LOAD_LU ; 8-byte Folded Reload
	v_mul_f64_e32 v[64:65], s[0:1], v[162:163]
	v_add_f64_e32 v[60:61], v[202:203], v[60:61]
	v_add_f64_e64 v[62:63], v[62:63], -v[176:177]
	v_add_f64_e32 v[50:51], v[50:51], v[70:71]
	v_add_f64_e32 v[48:49], v[48:49], v[68:69]
	s_delay_alu instid0(VALU_DEP_2) | instskip(NEXT) | instid1(VALU_DEP_2)
	v_add_f64_e32 v[50:51], v[50:51], v[74:75]
	v_add_f64_e32 v[48:49], v[48:49], v[72:73]
	s_delay_alu instid0(VALU_DEP_2) | instskip(NEXT) | instid1(VALU_DEP_2)
	v_add_f64_e32 v[50:51], v[50:51], v[86:87]
	v_add_f64_e32 v[48:49], v[48:49], v[84:85]
	v_mul_f64_e32 v[84:85], s[20:21], v[110:111]
	scratch_load_b64 v[86:87], off, off offset:208 th:TH_LOAD_LU ; 8-byte Folded Reload
	v_add_f64_e32 v[50:51], v[50:51], v[90:91]
	v_add_f64_e32 v[48:49], v[48:49], v[88:89]
	v_add_f64_e64 v[84:85], v[84:85], -v[234:235]
	s_delay_alu instid0(VALU_DEP_3) | instskip(NEXT) | instid1(VALU_DEP_3)
	v_add_f64_e32 v[50:51], v[50:51], v[94:95]
	v_add_f64_e32 v[48:49], v[48:49], v[92:93]
	s_delay_alu instid0(VALU_DEP_2) | instskip(NEXT) | instid1(VALU_DEP_2)
	v_add_f64_e32 v[50:51], v[50:51], v[98:99]
	v_add_f64_e32 v[48:49], v[48:49], v[96:97]
	s_delay_alu instid0(VALU_DEP_2) | instskip(SKIP_1) | instid1(VALU_DEP_3)
	v_add_f64_e32 v[50:51], v[50:51], v[78:79]
	v_mul_f64_e32 v[78:79], s[0:1], v[102:103]
	v_add_f64_e32 v[48:49], v[48:49], v[76:77]
	v_mul_f64_e32 v[76:77], s[18:19], v[122:123]
	s_delay_alu instid0(VALU_DEP_4) | instskip(NEXT) | instid1(VALU_DEP_4)
	v_add_f64_e32 v[46:47], v[50:51], v[46:47]
	v_add_f64_e64 v[78:79], v[78:79], -v[230:231]
	s_delay_alu instid0(VALU_DEP_4)
	v_add_f64_e32 v[44:45], v[48:49], v[44:45]
	v_mul_f64_e32 v[48:49], s[16:17], v[162:163]
	v_mul_f64_e32 v[50:51], s[16:17], v[130:131]
	v_add_f64_e64 v[76:77], v[76:77], -v[100:101]
	v_add_f64_e32 v[42:43], v[46:47], v[42:43]
	v_mul_f64_e32 v[46:47], s[18:19], v[130:131]
	v_add_f64_e32 v[40:41], v[44:45], v[40:41]
	v_mul_f64_e32 v[44:45], s[18:19], v[162:163]
	v_add_f64_e32 v[48:49], v[224:225], v[48:49]
	v_add_f64_e64 v[50:51], v[50:51], -v[222:223]
	v_add_f64_e32 v[38:39], v[42:43], v[38:39]
	v_mul_f64_e32 v[42:43], s[20:21], v[130:131]
	v_add_f64_e32 v[36:37], v[40:41], v[36:37]
	v_add_f64_e32 v[44:45], v[228:229], v[44:45]
	v_mul_f64_e32 v[40:41], s[20:21], v[162:163]
	v_add_f64_e64 v[46:47], v[46:47], -v[226:227]
	v_add_f64_e32 v[48:49], v[30:31], v[48:49]
	v_add_f64_e32 v[50:51], v[28:29], v[50:51]
	;; [unrolled: 1-line block ×3, first 2 shown]
	v_mul_f64_e32 v[38:39], s[22:23], v[130:131]
	v_add_f64_e32 v[32:33], v[36:37], v[32:33]
	v_mul_f64_e32 v[36:37], s[22:23], v[162:163]
	v_add_f64_e64 v[42:43], v[42:43], -v[232:233]
	v_add_f64_e32 v[72:73], v[30:31], v[44:45]
	v_add_f64_e32 v[44:45], v[30:31], v[52:53]
	;; [unrolled: 1-line block ×7, first 2 shown]
	v_add_f64_e64 v[38:39], v[38:39], -v[112:113]
	v_add_f64_e32 v[36:37], v[116:117], v[36:37]
	v_add_f64_e32 v[70:71], v[28:29], v[42:43]
	;; [unrolled: 1-line block ×3, first 2 shown]
	v_mul_f64_e32 v[58:59], s[20:21], v[118:119]
	v_add_f64_e32 v[38:39], v[28:29], v[38:39]
	v_add_f64_e32 v[36:37], v[30:31], v[36:37]
	s_delay_alu instid0(VALU_DEP_3) | instskip(NEXT) | instid1(VALU_DEP_3)
	v_add_f64_e32 v[58:59], v[246:247], v[58:59]
	v_add_f64_e32 v[38:39], v[78:79], v[38:39]
	s_delay_alu instid0(VALU_DEP_1)
	v_add_f64_e32 v[38:39], v[84:85], v[38:39]
	s_clause 0x1
	scratch_load_b64 v[84:85], off, off offset:200 th:TH_LOAD_LU
	scratch_load_b64 v[68:69], off, off offset:120 th:TH_LOAD_LU
	s_wait_loadcnt 0x3
	v_add_f64_e32 v[64:65], v[66:67], v[64:65]
	v_mul_f64_e32 v[66:67], s[0:1], v[130:131]
	s_delay_alu instid0(VALU_DEP_2) | instskip(SKIP_1) | instid1(VALU_DEP_1)
	v_add_f64_e32 v[60:61], v[30:31], v[64:65]
	v_mul_f64_e32 v[64:65], s[0:1], v[106:107]
	v_add_f64_e32 v[64:65], v[238:239], v[64:65]
	s_delay_alu instid0(VALU_DEP_1) | instskip(SKIP_1) | instid1(VALU_DEP_2)
	v_add_f64_e32 v[36:37], v[64:65], v[36:37]
	v_mul_f64_e32 v[64:65], s[6:7], v[114:115]
	v_add_f64_e32 v[36:37], v[58:59], v[36:37]
	s_delay_alu instid0(VALU_DEP_2) | instskip(SKIP_1) | instid1(VALU_DEP_2)
	v_add_f64_e64 v[64:65], v[64:65], -v[236:237]
	v_mul_f64_e32 v[58:59], s[16:17], v[154:155]
	v_add_f64_e32 v[38:39], v[64:65], v[38:39]
	s_delay_alu instid0(VALU_DEP_2)
	v_add_f64_e32 v[58:59], v[250:251], v[58:59]
	scratch_load_b64 v[64:65], off, off offset:240 th:TH_LOAD_LU ; 8-byte Folded Reload
	s_wait_loadcnt 0x1
	v_add_f64_e64 v[66:67], v[66:67], -v[68:69]
	v_add_f64_e32 v[68:69], v[30:31], v[40:41]
	v_add_f64_e32 v[40:41], v[30:31], v[56:57]
	v_mul_f64_e32 v[56:57], s[6:7], v[126:127]
	v_mul_f64_e32 v[30:31], s[18:19], v[142:143]
	v_add_f64_e32 v[62:63], v[28:29], v[66:67]
	v_mul_f64_e32 v[28:29], s[10:11], v[146:147]
	v_mul_f64_e32 v[66:67], s[10:11], v[134:135]
	v_add_f64_e32 v[56:57], v[252:253], v[56:57]
	v_add_f64_e32 v[30:31], v[104:105], v[30:31]
	s_delay_alu instid0(VALU_DEP_4) | instskip(NEXT) | instid1(VALU_DEP_4)
	v_add_f64_e32 v[28:29], v[108:109], v[28:29]
	v_add_f64_e64 v[66:67], v[66:67], -v[254:255]
	s_delay_alu instid0(VALU_DEP_4) | instskip(SKIP_1) | instid1(VALU_DEP_2)
	v_add_f64_e32 v[36:37], v[56:57], v[36:37]
	v_mul_f64_e32 v[56:57], s[16:17], v[138:139]
	v_add_f64_e32 v[30:31], v[30:31], v[36:37]
	v_add_f64_e32 v[36:37], v[76:77], v[38:39]
	scratch_load_b64 v[76:77], off, off offset:304 th:TH_LOAD_LU ; 8-byte Folded Reload
	v_mul_f64_e32 v[38:39], s[14:15], v[158:159]
	v_add_f64_e64 v[56:57], v[56:57], -v[244:245]
	scratch_load_b64 v[78:79], off, off offset:232 th:TH_LOAD_LU ; 8-byte Folded Reload
	v_add_f64_e32 v[28:29], v[28:29], v[30:31]
	v_add_f64_e32 v[30:31], v[66:67], v[36:37]
	v_mul_f64_e32 v[36:37], s[14:15], v[150:151]
	v_add_f64_e32 v[38:39], v[248:249], v[38:39]
	scratch_load_b64 v[66:67], off, off offset:216 th:TH_LOAD_LU ; 8-byte Folded Reload
	v_add_f64_e32 v[28:29], v[58:59], v[28:29]
	v_add_f64_e32 v[56:57], v[56:57], v[30:31]
	v_add_f64_e64 v[36:37], v[36:37], -v[242:243]
	scratch_load_b64 v[58:59], off, off offset:312 th:TH_LOAD_LU ; 8-byte Folded Reload
	v_add_f64_e32 v[30:31], v[38:39], v[28:29]
	scratch_load_b64 v[38:39], off, off offset:488 th:TH_LOAD_LU ; 8-byte Folded Reload
	v_add_f64_e32 v[28:29], v[36:37], v[56:57]
	scratch_load_b64 v[56:57], off, off offset:384 th:TH_LOAD_LU ; 8-byte Folded Reload
	v_mul_f64_e32 v[36:37], s[16:17], v[146:147]
	s_wait_loadcnt 0x1
	s_delay_alu instid0(VALU_DEP_1) | instskip(SKIP_2) | instid1(VALU_DEP_1)
	v_add_f64_e32 v[36:37], v[38:39], v[36:37]
	v_mul_f64_e32 v[38:39], s[20:21], v[142:143]
	s_wait_loadcnt 0x0
	v_add_f64_e32 v[38:39], v[56:57], v[38:39]
	v_mul_f64_e32 v[56:57], s[22:23], v[126:127]
	s_delay_alu instid0(VALU_DEP_1) | instskip(SKIP_1) | instid1(VALU_DEP_1)
	v_add_f64_e32 v[56:57], v[58:59], v[56:57]
	v_mul_f64_e32 v[58:59], s[18:19], v[118:119]
	v_add_f64_e32 v[58:59], v[64:65], v[58:59]
	v_mul_f64_e32 v[64:65], s[14:15], v[106:107]
	s_delay_alu instid0(VALU_DEP_1) | instskip(SKIP_1) | instid1(VALU_DEP_2)
	v_add_f64_e32 v[64:65], v[66:67], v[64:65]
	v_mul_f64_e32 v[66:67], s[20:21], v[122:123]
	v_add_f64_e32 v[52:53], v[64:65], v[52:53]
	s_delay_alu instid0(VALU_DEP_2) | instskip(SKIP_2) | instid1(VALU_DEP_4)
	v_add_f64_e64 v[66:67], v[66:67], -v[76:77]
	v_mul_f64_e32 v[76:77], s[22:23], v[114:115]
	v_mul_f64_e32 v[64:65], s[16:17], v[134:135]
	v_add_f64_e32 v[52:53], v[58:59], v[52:53]
	v_mul_f64_e32 v[58:59], s[10:11], v[154:155]
	s_delay_alu instid0(VALU_DEP_4) | instskip(SKIP_1) | instid1(VALU_DEP_4)
	v_add_f64_e64 v[76:77], v[76:77], -v[78:79]
	v_mul_f64_e32 v[78:79], s[14:15], v[102:103]
	v_add_f64_e32 v[52:53], v[56:57], v[52:53]
	v_mul_f64_e32 v[56:57], s[10:11], v[138:139]
	s_delay_alu instid0(VALU_DEP_3) | instskip(SKIP_1) | instid1(VALU_DEP_4)
	v_add_f64_e64 v[78:79], v[78:79], -v[84:85]
	v_mul_f64_e32 v[84:85], s[18:19], v[110:111]
	v_add_f64_e32 v[38:39], v[38:39], v[52:53]
	s_delay_alu instid0(VALU_DEP_3) | instskip(SKIP_3) | instid1(VALU_DEP_2)
	v_add_f64_e32 v[54:55], v[78:79], v[54:55]
	scratch_load_b64 v[78:79], off, off offset:256 th:TH_LOAD_LU ; 8-byte Folded Reload
	v_add_f64_e64 v[84:85], v[84:85], -v[86:87]
	v_add_f64_e32 v[36:37], v[36:37], v[38:39]
	v_add_f64_e32 v[54:55], v[84:85], v[54:55]
	scratch_load_b64 v[84:85], off, off offset:224 th:TH_LOAD_LU ; 8-byte Folded Reload
	v_add_f64_e32 v[54:55], v[76:77], v[54:55]
	s_clause 0x1
	scratch_load_b64 v[76:77], off, off offset:264 th:TH_LOAD_LU
	scratch_load_b64 v[86:87], off, off offset:248 th:TH_LOAD_LU
	v_add_f64_e32 v[52:53], v[66:67], v[54:55]
	v_mul_f64_e32 v[54:55], s[0:1], v[158:159]
	scratch_load_b64 v[66:67], off, off offset:336 th:TH_LOAD_LU ; 8-byte Folded Reload
	s_wait_loadcnt 0x4
	v_add_f64_e64 v[64:65], v[64:65], -v[78:79]
	scratch_load_b64 v[78:79], off, off offset:320 th:TH_LOAD_LU ; 8-byte Folded Reload
	v_add_f64_e32 v[38:39], v[64:65], v[52:53]
	scratch_load_b64 v[64:65], off, off offset:272 th:TH_LOAD_LU ; 8-byte Folded Reload
	v_mul_f64_e32 v[52:53], s[0:1], v[150:151]
	s_wait_loadcnt 0x4
	v_add_f64_e64 v[56:57], v[56:57], -v[76:77]
	scratch_load_b64 v[76:77], off, off offset:504 th:TH_LOAD_LU ; 8-byte Folded Reload
	v_add_f64_e32 v[56:57], v[56:57], v[38:39]
	s_wait_loadcnt 0x3
	v_add_f64_e32 v[54:55], v[66:67], v[54:55]
	scratch_load_b64 v[66:67], off, off offset:296 th:TH_LOAD_LU ; 8-byte Folded Reload
	s_wait_loadcnt 0x3
	v_add_f64_e32 v[58:59], v[78:79], v[58:59]
	scratch_load_b64 v[78:79], off, off offset:408 th:TH_LOAD_LU ; 8-byte Folded Reload
	s_wait_loadcnt 0x3
	v_add_f64_e64 v[52:53], v[52:53], -v[64:65]
	v_add_f64_e32 v[36:37], v[58:59], v[36:37]
	s_clause 0x1
	scratch_load_b64 v[58:59], off, off offset:440 th:TH_LOAD_LU
	scratch_load_b64 v[64:65], off, off offset:368 th:TH_LOAD_LU
	v_add_f64_e32 v[38:39], v[54:55], v[36:37]
	v_add_f64_e32 v[36:37], v[52:53], v[56:57]
	scratch_load_b64 v[56:57], off, off offset:576 th:TH_LOAD_LU ; 8-byte Folded Reload
	v_mul_f64_e32 v[54:55], s[6:7], v[142:143]
	v_mul_f64_e32 v[52:53], s[0:1], v[146:147]
	s_delay_alu instid0(VALU_DEP_1) | instskip(SKIP_1) | instid1(VALU_DEP_3)
	v_add_f64_e32 v[52:53], v[156:157], v[52:53]
	s_wait_loadcnt 0x0
	v_add_f64_e32 v[54:55], v[56:57], v[54:55]
	v_mul_f64_e32 v[56:57], s[16:17], v[126:127]
	s_delay_alu instid0(VALU_DEP_1) | instskip(SKIP_1) | instid1(VALU_DEP_1)
	v_add_f64_e32 v[56:57], v[58:59], v[56:57]
	v_mul_f64_e32 v[58:59], s[22:23], v[118:119]
	v_add_f64_e32 v[58:59], v[64:65], v[58:59]
	v_mul_f64_e32 v[64:65], s[18:19], v[106:107]
	s_delay_alu instid0(VALU_DEP_1) | instskip(SKIP_1) | instid1(VALU_DEP_2)
	v_add_f64_e32 v[64:65], v[66:67], v[64:65]
	v_mul_f64_e32 v[66:67], s[0:1], v[134:135]
	v_add_f64_e32 v[40:41], v[64:65], v[40:41]
	s_delay_alu instid0(VALU_DEP_2) | instskip(SKIP_2) | instid1(VALU_DEP_4)
	v_add_f64_e64 v[66:67], v[66:67], -v[76:77]
	v_mul_f64_e32 v[76:77], s[6:7], v[122:123]
	v_mul_f64_e32 v[64:65], s[16:17], v[114:115]
	v_add_f64_e32 v[40:41], v[58:59], v[40:41]
	v_mul_f64_e32 v[58:59], s[14:15], v[154:155]
	s_delay_alu instid0(VALU_DEP_4) | instskip(SKIP_1) | instid1(VALU_DEP_4)
	v_add_f64_e64 v[76:77], v[76:77], -v[78:79]
	v_mul_f64_e32 v[78:79], s[18:19], v[102:103]
	v_add_f64_e32 v[40:41], v[56:57], v[40:41]
	v_mul_f64_e32 v[56:57], s[14:15], v[138:139]
	s_delay_alu instid0(VALU_DEP_3) | instskip(SKIP_1) | instid1(VALU_DEP_4)
	v_add_f64_e64 v[78:79], v[78:79], -v[84:85]
	v_mul_f64_e32 v[84:85], s[22:23], v[110:111]
	v_add_f64_e32 v[40:41], v[54:55], v[40:41]
	v_mul_f64_e32 v[54:55], s[20:21], v[158:159]
	s_delay_alu instid0(VALU_DEP_4)
	v_add_f64_e32 v[42:43], v[78:79], v[42:43]
	scratch_load_b64 v[78:79], off, off offset:288 th:TH_LOAD_LU ; 8-byte Folded Reload
	v_add_f64_e64 v[84:85], v[84:85], -v[86:87]
	scratch_load_b64 v[86:87], off, off offset:328 th:TH_LOAD_LU ; 8-byte Folded Reload
	v_add_f64_e32 v[40:41], v[52:53], v[40:41]
	v_mul_f64_e32 v[52:53], s[20:21], v[150:151]
	v_add_f64_e32 v[42:43], v[84:85], v[42:43]
	scratch_load_b64 v[84:85], off, off offset:280 th:TH_LOAD_LU ; 8-byte Folded Reload
	s_wait_loadcnt 0x2
	v_add_f64_e64 v[64:65], v[64:65], -v[78:79]
	scratch_load_b64 v[78:79], off, off offset:448 th:TH_LOAD_LU ; 8-byte Folded Reload
	v_add_f64_e32 v[42:43], v[64:65], v[42:43]
	scratch_load_b64 v[64:65], off, off offset:392 th:TH_LOAD_LU ; 8-byte Folded Reload
	v_add_f64_e32 v[42:43], v[76:77], v[42:43]
	;; [unrolled: 2-line block ×3, first 2 shown]
	scratch_load_b64 v[66:67], off, off offset:376 th:TH_LOAD_LU ; 8-byte Folded Reload
	s_wait_loadcnt 0x3
	v_add_f64_e32 v[58:59], v[78:79], v[58:59]
	scratch_load_b64 v[78:79], off, off offset:496 th:TH_LOAD_LU ; 8-byte Folded Reload
	s_wait_loadcnt 0x3
	v_add_f64_e64 v[56:57], v[56:57], -v[64:65]
	scratch_load_b64 v[64:65], off, off offset:432 th:TH_LOAD_LU ; 8-byte Folded Reload
	v_add_f64_e32 v[40:41], v[58:59], v[40:41]
	scratch_load_b64 v[58:59], off, off offset:544 th:TH_LOAD_LU ; 8-byte Folded Reload
	v_add_f64_e32 v[56:57], v[56:57], v[42:43]
	s_wait_loadcnt 0x1
	v_add_f64_e32 v[54:55], v[64:65], v[54:55]
	scratch_load_b64 v[64:65], off, off offset:360 th:TH_LOAD_LU ; 8-byte Folded Reload
	v_add_f64_e32 v[42:43], v[54:55], v[40:41]
	v_mul_f64_e32 v[54:55], s[10:11], v[142:143]
	s_wait_loadcnt 0x0
	v_add_f64_e64 v[52:53], v[52:53], -v[64:65]
	scratch_load_b64 v[64:65], off, off offset:464 th:TH_LOAD_LU ; 8-byte Folded Reload
	v_add_f64_e32 v[40:41], v[52:53], v[56:57]
	scratch_load_b64 v[56:57], off, off offset:640 th:TH_LOAD_LU ; 8-byte Folded Reload
	v_mul_f64_e32 v[52:53], s[20:21], v[146:147]
	s_delay_alu instid0(VALU_DEP_1) | instskip(SKIP_3) | instid1(VALU_DEP_1)
	v_add_f64_e32 v[52:53], v[178:179], v[52:53]
	s_wait_loadcnt 0x0
	v_add_f64_e32 v[54:55], v[56:57], v[54:55]
	v_mul_f64_e32 v[56:57], s[0:1], v[126:127]
	v_add_f64_e32 v[56:57], v[58:59], v[56:57]
	v_mul_f64_e32 v[58:59], s[16:17], v[118:119]
	s_delay_alu instid0(VALU_DEP_1) | instskip(SKIP_1) | instid1(VALU_DEP_1)
	v_add_f64_e32 v[58:59], v[64:65], v[58:59]
	v_mul_f64_e32 v[64:65], s[22:23], v[106:107]
	v_add_f64_e32 v[64:65], v[66:67], v[64:65]
	v_mul_f64_e32 v[66:67], s[20:21], v[134:135]
	s_delay_alu instid0(VALU_DEP_2) | instskip(NEXT) | instid1(VALU_DEP_2)
	v_add_f64_e32 v[44:45], v[64:65], v[44:45]
	v_add_f64_e64 v[66:67], v[66:67], -v[76:77]
	v_mul_f64_e32 v[76:77], s[10:11], v[122:123]
	v_mul_f64_e32 v[64:65], s[0:1], v[114:115]
	s_delay_alu instid0(VALU_DEP_4) | instskip(SKIP_1) | instid1(VALU_DEP_4)
	v_add_f64_e32 v[44:45], v[58:59], v[44:45]
	v_mul_f64_e32 v[58:59], s[18:19], v[154:155]
	v_add_f64_e64 v[76:77], v[76:77], -v[78:79]
	v_mul_f64_e32 v[78:79], s[22:23], v[102:103]
	s_delay_alu instid0(VALU_DEP_4) | instskip(SKIP_1) | instid1(VALU_DEP_3)
	v_add_f64_e32 v[44:45], v[56:57], v[44:45]
	v_mul_f64_e32 v[56:57], s[18:19], v[138:139]
	v_add_f64_e64 v[78:79], v[78:79], -v[84:85]
	v_mul_f64_e32 v[84:85], s[16:17], v[110:111]
	s_delay_alu instid0(VALU_DEP_4) | instskip(SKIP_1) | instid1(VALU_DEP_4)
	v_add_f64_e32 v[44:45], v[54:55], v[44:45]
	v_mul_f64_e32 v[54:55], s[6:7], v[158:159]
	v_add_f64_e32 v[46:47], v[78:79], v[46:47]
	scratch_load_b64 v[78:79], off, off offset:352 th:TH_LOAD_LU ; 8-byte Folded Reload
	v_add_f64_e64 v[84:85], v[84:85], -v[86:87]
	scratch_load_b64 v[86:87], off, off offset:400 th:TH_LOAD_LU ; 8-byte Folded Reload
	v_add_f64_e32 v[44:45], v[52:53], v[44:45]
	v_mul_f64_e32 v[52:53], s[6:7], v[150:151]
	v_add_f64_e32 v[46:47], v[84:85], v[46:47]
	scratch_load_b64 v[84:85], off, off offset:344 th:TH_LOAD_LU ; 8-byte Folded Reload
	s_wait_loadcnt 0x2
	v_add_f64_e64 v[64:65], v[64:65], -v[78:79]
	scratch_load_b64 v[78:79], off, off offset:552 th:TH_LOAD_LU ; 8-byte Folded Reload
	v_add_f64_e32 v[46:47], v[64:65], v[46:47]
	scratch_load_b64 v[64:65], off, off offset:480 th:TH_LOAD_LU ; 8-byte Folded Reload
	v_add_f64_e32 v[46:47], v[76:77], v[46:47]
	v_mul_f64_e32 v[76:77], s[22:23], v[122:123]
	s_delay_alu instid0(VALU_DEP_2)
	v_add_f64_e32 v[46:47], v[66:67], v[46:47]
	scratch_load_b64 v[66:67], off, off offset:472 th:TH_LOAD_LU ; 8-byte Folded Reload
	s_wait_loadcnt 0x2
	v_add_f64_e32 v[58:59], v[78:79], v[58:59]
	scratch_load_b64 v[78:79], off, off offset:616 th:TH_LOAD_LU ; 8-byte Folded Reload
	v_add_f64_e32 v[44:45], v[58:59], v[44:45]
	v_mul_f64_e32 v[58:59], s[6:7], v[118:119]
	s_wait_loadcnt 0x0
	v_add_f64_e64 v[76:77], v[76:77], -v[78:79]
	v_mul_f64_e32 v[78:79], s[20:21], v[102:103]
	s_delay_alu instid0(VALU_DEP_1) | instskip(SKIP_1) | instid1(VALU_DEP_2)
	v_add_f64_e64 v[78:79], v[78:79], -v[84:85]
	v_mul_f64_e32 v[84:85], s[6:7], v[110:111]
	v_add_f64_e32 v[50:51], v[78:79], v[50:51]
	s_delay_alu instid0(VALU_DEP_2)
	v_add_f64_e64 v[84:85], v[84:85], -v[86:87]
	scratch_load_b64 v[86:87], off, off offset:520 th:TH_LOAD_LU ; 8-byte Folded Reload
	v_add_f64_e64 v[56:57], v[56:57], -v[64:65]
	s_clause 0x1
	scratch_load_b64 v[64:65], off, off offset:536 th:TH_LOAD_LU
	scratch_load_b64 v[78:79], off, off offset:424 th:TH_LOAD_LU
	v_add_f64_e32 v[50:51], v[84:85], v[50:51]
	scratch_load_b64 v[84:85], off, off offset:416 th:TH_LOAD_LU ; 8-byte Folded Reload
	v_add_f64_e32 v[56:57], v[56:57], v[46:47]
	s_wait_loadcnt 0x2
	v_add_f64_e32 v[54:55], v[64:65], v[54:55]
	scratch_load_b64 v[64:65], off, off offset:456 th:TH_LOAD_LU ; 8-byte Folded Reload
	v_add_f64_e32 v[46:47], v[54:55], v[44:45]
	v_mul_f64_e32 v[54:55], s[22:23], v[142:143]
	s_delay_alu instid0(VALU_DEP_1)
	v_add_f64_e32 v[54:55], v[186:187], v[54:55]
	s_wait_loadcnt 0x0
	v_add_f64_e64 v[52:53], v[52:53], -v[64:65]
	scratch_load_b64 v[64:65], off, off offset:568 th:TH_LOAD_LU ; 8-byte Folded Reload
	v_add_f64_e32 v[44:45], v[52:53], v[56:57]
	v_mul_f64_e32 v[56:57], s[10:11], v[126:127]
	v_mul_f64_e32 v[52:53], s[14:15], v[146:147]
	s_delay_alu instid0(VALU_DEP_2) | instskip(NEXT) | instid1(VALU_DEP_2)
	v_add_f64_e32 v[56:57], v[152:153], v[56:57]
	v_add_f64_e32 v[52:53], v[204:205], v[52:53]
	s_wait_loadcnt 0x0
	v_add_f64_e32 v[58:59], v[64:65], v[58:59]
	v_mul_f64_e32 v[64:65], s[20:21], v[106:107]
	s_delay_alu instid0(VALU_DEP_1) | instskip(SKIP_1) | instid1(VALU_DEP_2)
	v_add_f64_e32 v[64:65], v[66:67], v[64:65]
	v_mul_f64_e32 v[66:67], s[14:15], v[134:135]
	v_add_f64_e32 v[48:49], v[64:65], v[48:49]
	v_mul_f64_e32 v[64:65], s[10:11], v[114:115]
	s_delay_alu instid0(VALU_DEP_3) | instskip(NEXT) | instid1(VALU_DEP_3)
	v_add_f64_e64 v[66:67], v[66:67], -v[170:171]
	v_add_f64_e32 v[48:49], v[58:59], v[48:49]
	s_delay_alu instid0(VALU_DEP_3) | instskip(SKIP_2) | instid1(VALU_DEP_4)
	v_add_f64_e64 v[64:65], v[64:65], -v[78:79]
	v_mul_f64_e32 v[78:79], s[16:17], v[102:103]
	v_mul_f64_e32 v[58:59], s[0:1], v[154:155]
	v_add_f64_e32 v[48:49], v[56:57], v[48:49]
	s_delay_alu instid0(VALU_DEP_4)
	v_add_f64_e32 v[50:51], v[64:65], v[50:51]
	scratch_load_b64 v[64:65], off, off offset:592 th:TH_LOAD_LU ; 8-byte Folded Reload
	v_mul_f64_e32 v[56:57], s[0:1], v[138:139]
	v_add_f64_e64 v[78:79], v[78:79], -v[84:85]
	v_add_f64_e32 v[58:59], v[160:161], v[58:59]
	v_mul_f64_e32 v[84:85], s[0:1], v[110:111]
	v_add_f64_e32 v[48:49], v[54:55], v[48:49]
	v_add_f64_e32 v[50:51], v[76:77], v[50:51]
	v_mul_f64_e32 v[54:55], s[18:19], v[158:159]
	v_mul_f64_e32 v[76:77], s[14:15], v[122:123]
	v_add_f64_e64 v[84:85], v[84:85], -v[86:87]
	scratch_load_b64 v[86:87], off, off offset:608 th:TH_LOAD_LU ; 8-byte Folded Reload
	v_add_f64_e32 v[48:49], v[52:53], v[48:49]
	v_add_f64_e32 v[50:51], v[66:67], v[50:51]
	scratch_load_b64 v[66:67], off, off offset:584 th:TH_LOAD_LU ; 8-byte Folded Reload
	v_mul_f64_e32 v[52:53], s[18:19], v[150:151]
	v_add_f64_e32 v[54:55], v[144:145], v[54:55]
	v_add_f64_e64 v[76:77], v[76:77], -v[120:121]
	v_add_f64_e32 v[48:49], v[58:59], v[48:49]
	v_mul_f64_e32 v[58:59], s[0:1], v[118:119]
	s_delay_alu instid0(VALU_DEP_1)
	v_add_f64_e32 v[58:59], v[166:167], v[58:59]
	s_wait_loadcnt 0x2
	v_add_f64_e64 v[56:57], v[56:57], -v[64:65]
	scratch_load_b64 v[64:65], off, off offset:560 th:TH_LOAD_LU ; 8-byte Folded Reload
	v_add_f64_e32 v[56:57], v[56:57], v[50:51]
	v_add_f64_e32 v[50:51], v[54:55], v[48:49]
	v_mul_f64_e32 v[54:55], s[14:15], v[142:143]
	s_delay_alu instid0(VALU_DEP_1) | instskip(SKIP_3) | instid1(VALU_DEP_2)
	v_add_f64_e32 v[54:55], v[200:201], v[54:55]
	s_wait_loadcnt 0x0
	v_add_f64_e64 v[52:53], v[52:53], -v[64:65]
	v_mul_f64_e32 v[64:65], s[16:17], v[106:107]
	v_add_f64_e32 v[48:49], v[52:53], v[56:57]
	s_delay_alu instid0(VALU_DEP_2) | instskip(SKIP_3) | instid1(VALU_DEP_4)
	v_add_f64_e32 v[64:65], v[66:67], v[64:65]
	v_mul_f64_e32 v[56:57], s[20:21], v[126:127]
	v_mul_f64_e32 v[52:53], s[6:7], v[146:147]
	;; [unrolled: 1-line block ×3, first 2 shown]
	v_add_f64_e32 v[64:65], v[64:65], v[72:73]
	v_add_f64_e32 v[72:73], v[78:79], v[74:75]
	scratch_load_b64 v[78:79], off, off offset:528 th:TH_LOAD_LU ; 8-byte Folded Reload
	v_mul_f64_e32 v[74:75], s[20:21], v[114:115]
	v_add_f64_e32 v[56:57], v[188:189], v[56:57]
	v_add_f64_e32 v[52:53], v[210:211], v[52:53]
	v_add_f64_e64 v[66:67], v[66:67], -v[192:193]
	v_add_f64_e32 v[58:59], v[58:59], v[64:65]
	v_add_f64_e32 v[64:65], v[84:85], v[72:73]
	scratch_load_b64 v[84:85], off, off offset:512 th:TH_LOAD_LU ; 8-byte Folded Reload
	v_mul_f64_e32 v[72:73], s[22:23], v[154:155]
	v_add_f64_e32 v[56:57], v[56:57], v[58:59]
	s_delay_alu instid0(VALU_DEP_2) | instskip(NEXT) | instid1(VALU_DEP_2)
	v_add_f64_e32 v[72:73], v[180:181], v[72:73]
	v_add_f64_e32 v[54:55], v[54:55], v[56:57]
	s_delay_alu instid0(VALU_DEP_1) | instskip(NEXT) | instid1(VALU_DEP_1)
	v_add_f64_e32 v[52:53], v[52:53], v[54:55]
	v_add_f64_e32 v[52:53], v[72:73], v[52:53]
	v_mul_f64_e32 v[72:73], s[10:11], v[106:107]
	s_delay_alu instid0(VALU_DEP_1) | instskip(NEXT) | instid1(VALU_DEP_1)
	v_add_f64_e32 v[72:73], v[148:149], v[72:73]
	v_add_f64_e32 v[68:69], v[72:73], v[68:69]
	v_mul_f64_e32 v[72:73], s[18:19], v[114:115]
	s_wait_loadcnt 0x1
	v_add_f64_e64 v[74:75], v[74:75], -v[78:79]
	v_mul_f64_e32 v[78:79], s[10:11], v[102:103]
	s_delay_alu instid0(VALU_DEP_2) | instskip(SKIP_1) | instid1(VALU_DEP_2)
	v_add_f64_e32 v[58:59], v[74:75], v[64:65]
	s_wait_loadcnt 0x0
	v_add_f64_e64 v[78:79], v[78:79], -v[84:85]
	v_mul_f64_e32 v[64:65], s[22:23], v[138:139]
	v_mul_f64_e32 v[84:85], s[14:15], v[110:111]
	;; [unrolled: 1-line block ×3, first 2 shown]
	v_add_f64_e32 v[56:57], v[76:77], v[58:59]
	v_add_f64_e32 v[70:71], v[78:79], v[70:71]
	scratch_load_b64 v[78:79], off, off offset:624 th:TH_LOAD_LU ; 8-byte Folded Reload
	v_add_f64_e64 v[64:65], v[64:65], -v[164:165]
	v_mul_f64_e32 v[58:59], s[10:11], v[158:159]
	v_add_f64_e64 v[84:85], v[84:85], -v[86:87]
	scratch_load_b64 v[86:87], off, off offset:160 th:TH_LOAD_LU ; 8-byte Folded Reload
	v_mul_f64_e32 v[76:77], s[0:1], v[122:123]
	v_add_f64_e64 v[74:75], v[74:75], -v[206:207]
	v_add_f64_e32 v[54:55], v[66:67], v[56:57]
	scratch_load_b64 v[66:67], off, off offset:632 th:TH_LOAD_LU ; 8-byte Folded Reload
	v_mul_f64_e32 v[56:57], s[10:11], v[150:151]
	v_add_f64_e32 v[58:59], v[174:175], v[58:59]
	v_add_f64_e64 v[76:77], v[76:77], -v[190:191]
	v_add_f64_e32 v[64:65], v[64:65], v[54:55]
	s_delay_alu instid0(VALU_DEP_3) | instskip(SKIP_1) | instid1(VALU_DEP_1)
	v_add_f64_e32 v[54:55], v[58:59], v[52:53]
	v_mul_f64_e32 v[58:59], s[0:1], v[142:143]
	v_add_f64_e32 v[58:59], v[208:209], v[58:59]
	s_wait_loadcnt 0x2
	v_add_f64_e64 v[72:73], v[72:73], -v[78:79]
	scratch_load_b64 v[78:79], off, off offset:64 th:TH_LOAD_LU ; 8-byte Folded Reload
	s_wait_loadcnt 0x1
	v_add_f64_e64 v[56:57], v[56:57], -v[66:67]
	v_mul_f64_e32 v[66:67], s[14:15], v[118:119]
	s_delay_alu instid0(VALU_DEP_2) | instskip(SKIP_1) | instid1(VALU_DEP_3)
	v_add_f64_e32 v[52:53], v[56:57], v[64:65]
	v_mul_f64_e32 v[64:65], s[18:19], v[126:127]
	v_add_f64_e32 v[66:67], v[184:185], v[66:67]
	v_mul_f64_e32 v[56:57], s[22:23], v[146:147]
	s_delay_alu instid0(VALU_DEP_3) | instskip(NEXT) | instid1(VALU_DEP_3)
	v_add_f64_e32 v[64:65], v[198:199], v[64:65]
	v_add_f64_e32 v[66:67], v[66:67], v[68:69]
	;; [unrolled: 1-line block ×3, first 2 shown]
	s_delay_alu instid0(VALU_DEP_4)
	v_add_f64_e32 v[56:57], v[212:213], v[56:57]
	v_mul_f64_e32 v[70:71], s[6:7], v[154:155]
	scratch_load_b64 v[84:85], off, off offset:96 th:TH_LOAD_LU ; 8-byte Folded Reload
	v_add_f64_e32 v[64:65], v[64:65], v[66:67]
	v_add_f64_e32 v[66:67], v[72:73], v[68:69]
	v_mul_f64_e32 v[68:69], s[6:7], v[138:139]
	v_add_f64_e32 v[70:71], v[196:197], v[70:71]
	scratch_load_b64 v[72:73], off, off offset:28 th:TH_LOAD_LU ; 8-byte Folded Reload
	v_add_f64_e32 v[58:59], v[58:59], v[64:65]
	v_add_f64_e32 v[64:65], v[76:77], v[66:67]
	scratch_load_b64 v[76:77], off, off offset:44 th:TH_LOAD_LU ; 8-byte Folded Reload
	v_mul_f64_e32 v[66:67], s[16:17], v[158:159]
	v_add_f64_e64 v[68:69], v[68:69], -v[182:183]
	v_add_f64_e32 v[56:57], v[56:57], v[58:59]
	v_add_f64_e32 v[58:59], v[74:75], v[64:65]
	v_mul_f64_e32 v[64:65], s[16:17], v[150:151]
	v_add_f64_e32 v[66:67], v[194:195], v[66:67]
	scratch_load_b64 v[74:75], off, off offset:12 th:TH_LOAD_LU ; 8-byte Folded Reload
	v_add_f64_e32 v[56:57], v[70:71], v[56:57]
	v_add_f64_e32 v[68:69], v[68:69], v[58:59]
	v_add_f64_e64 v[64:65], v[64:65], -v[172:173]
	scratch_load_b64 v[70:71], off, off offset:80 th:TH_LOAD_LU ; 8-byte Folded Reload
	v_add_f64_e32 v[58:59], v[66:67], v[56:57]
	scratch_load_b64 v[66:67], off, off offset:152 th:TH_LOAD_LU ; 8-byte Folded Reload
	v_add_f64_e32 v[56:57], v[64:65], v[68:69]
	scratch_load_b64 v[68:69], off, off offset:112 th:TH_LOAD_LU ; 8-byte Folded Reload
	v_mul_f64_e32 v[64:65], s[16:17], v[142:143]
	s_wait_loadcnt 0x1
	s_delay_alu instid0(VALU_DEP_1) | instskip(SKIP_2) | instid1(VALU_DEP_1)
	v_add_f64_e32 v[64:65], v[66:67], v[64:65]
	v_mul_f64_e32 v[66:67], s[14:15], v[126:127]
	s_wait_loadcnt 0x0
	v_add_f64_e32 v[66:67], v[68:69], v[66:67]
	v_mul_f64_e32 v[68:69], s[10:11], v[118:119]
	s_delay_alu instid0(VALU_DEP_1) | instskip(SKIP_1) | instid1(VALU_DEP_1)
	v_add_f64_e32 v[68:69], v[70:71], v[68:69]
	v_mul_f64_e32 v[70:71], s[6:7], v[106:107]
	v_add_f64_e32 v[70:71], v[72:73], v[70:71]
	v_mul_f64_e32 v[72:73], s[6:7], v[102:103]
	s_delay_alu instid0(VALU_DEP_2) | instskip(NEXT) | instid1(VALU_DEP_2)
	v_add_f64_e32 v[60:61], v[70:71], v[60:61]
	v_add_f64_e64 v[72:73], v[72:73], -v[74:75]
	v_mul_f64_e32 v[70:71], s[18:19], v[134:135]
	v_mul_f64_e32 v[74:75], s[10:11], v[110:111]
	s_delay_alu instid0(VALU_DEP_4) | instskip(NEXT) | instid1(VALU_DEP_4)
	v_add_f64_e32 v[60:61], v[68:69], v[60:61]
	v_add_f64_e32 v[62:63], v[72:73], v[62:63]
	scratch_load_b64 v[72:73], off, off offset:128 th:TH_LOAD_LU ; 8-byte Folded Reload
	v_mul_f64_e32 v[68:69], s[20:21], v[154:155]
	v_add_f64_e64 v[74:75], v[74:75], -v[76:77]
	v_mul_f64_e32 v[76:77], s[14:15], v[114:115]
	v_add_f64_e32 v[60:61], v[66:67], v[60:61]
	v_mul_f64_e32 v[66:67], s[20:21], v[138:139]
	s_delay_alu instid0(VALU_DEP_4) | instskip(NEXT) | instid1(VALU_DEP_4)
	v_add_f64_e32 v[62:63], v[74:75], v[62:63]
	v_add_f64_e64 v[76:77], v[76:77], -v[78:79]
	v_mul_f64_e32 v[78:79], s[16:17], v[122:123]
	v_add_f64_e32 v[60:61], v[64:65], v[60:61]
	v_mul_f64_e32 v[64:65], s[22:23], v[158:159]
	s_delay_alu instid0(VALU_DEP_4) | instskip(NEXT) | instid1(VALU_DEP_4)
	v_add_f64_e32 v[62:63], v[76:77], v[62:63]
	v_add_f64_e64 v[78:79], v[78:79], -v[84:85]
	v_mul_f64_e32 v[84:85], s[18:19], v[146:147]
	s_delay_alu instid0(VALU_DEP_2) | instskip(NEXT) | instid1(VALU_DEP_2)
	v_add_f64_e32 v[62:63], v[78:79], v[62:63]
	v_add_f64_e32 v[84:85], v[86:87], v[84:85]
	s_delay_alu instid0(VALU_DEP_1)
	v_add_f64_e32 v[60:61], v[84:85], v[60:61]
	s_wait_loadcnt 0x0
	v_add_f64_e64 v[70:71], v[70:71], -v[72:73]
	scratch_load_b64 v[72:73], off, off offset:176 th:TH_LOAD_LU ; 8-byte Folded Reload
	v_add_f64_e32 v[62:63], v[70:71], v[62:63]
	v_mul_f64_e32 v[70:71], s[22:23], v[150:151]
	s_wait_loadcnt 0x0
	v_add_f64_e32 v[68:69], v[72:73], v[68:69]
	scratch_load_b64 v[72:73], off, off offset:144 th:TH_LOAD_LU ; 8-byte Folded Reload
	v_add_f64_e32 v[60:61], v[68:69], v[60:61]
	s_wait_loadcnt 0x0
	v_add_f64_e64 v[66:67], v[66:67], -v[72:73]
	scratch_load_b64 v[72:73], off, off offset:184 th:TH_LOAD_LU ; 8-byte Folded Reload
	v_add_f64_e32 v[66:67], v[66:67], v[62:63]
	s_wait_loadcnt 0x0
	v_add_f64_e32 v[64:65], v[72:73], v[64:65]
	scratch_load_b64 v[72:73], off, off offset:168 th:TH_LOAD_LU ; 8-byte Folded Reload
	v_add_f64_e32 v[62:63], v[64:65], v[60:61]
	v_mul_lo_u16 v64, v169, 17
	s_delay_alu instid0(VALU_DEP_1) | instskip(NEXT) | instid1(VALU_DEP_1)
	v_and_b32_e32 v64, 0xffff, v64
	v_lshlrev_b32_e32 v64, 4, v64
	s_wait_loadcnt 0x0
	v_add_f64_e64 v[70:71], v[70:71], -v[72:73]
	s_delay_alu instid0(VALU_DEP_1)
	v_add_f64_e32 v[60:61], v[70:71], v[66:67]
	ds_store_b128 v64, v[36:39] offset:32
	ds_store_b128 v64, v[24:27] offset:160
	;; [unrolled: 1-line block ×15, first 2 shown]
	ds_store_b128 v64, v[32:35]
	ds_store_b128 v64, v[0:3] offset:256
.LBB0_7:
	s_wait_alu 0xfffe
	s_or_b32 exec_lo, exec_lo, s24
	v_and_b32_e32 v28, 0xff, v169
	s_load_b128 s[4:7], s[4:5], 0x0
	global_wb scope:SCOPE_SE
	s_wait_storecnt_dscnt 0x0
	s_wait_kmcnt 0x0
	s_barrier_signal -1
	s_barrier_wait -1
	v_mul_lo_u16 v28, 0xf1, v28
	global_inv scope:SCOPE_SE
	s_mov_b32 s0, 0x8c811c17
	s_mov_b32 s14, 0xa2cf5039
	;; [unrolled: 1-line block ×3, first 2 shown]
	v_lshrrev_b16 v28, 12, v28
	s_mov_b32 s10, 0x523c161c
	s_mov_b32 s1, 0x3fef838b
	;; [unrolled: 1-line block ×4, first 2 shown]
	v_mul_lo_u16 v29, v28, 17
	s_mov_b32 s17, 0xbfee11f6
	v_and_b32_e32 v28, 0xffff, v28
	s_delay_alu instid0(VALU_DEP_2) | instskip(NEXT) | instid1(VALU_DEP_2)
	v_sub_nc_u16 v29, v169, v29
	v_mul_u32_u24_e32 v28, 0x99, v28
	s_delay_alu instid0(VALU_DEP_2) | instskip(NEXT) | instid1(VALU_DEP_1)
	v_and_b32_e32 v29, 0xff, v29
	v_lshlrev_b32_e32 v30, 7, v29
	s_delay_alu instid0(VALU_DEP_3)
	v_add_lshl_u32 v246, v28, v29, 4
	s_clause 0x7
	global_load_b128 v[35:38], v30, s[2:3]
	global_load_b128 v[48:51], v30, s[2:3] offset:112
	global_load_b128 v[44:47], v30, s[2:3] offset:16
	;; [unrolled: 1-line block ×7, first 2 shown]
	ds_load_b128 v[60:63], v168 offset:1632
	ds_load_b128 v[64:67], v168 offset:13056
	;; [unrolled: 1-line block ×7, first 2 shown]
	s_wait_loadcnt_dscnt 0x706
	v_mul_f64_e32 v[92:93], v[62:63], v[37:38]
	v_mul_f64_e32 v[94:95], v[60:61], v[37:38]
	s_wait_loadcnt_dscnt 0x605
	v_mul_f64_e32 v[96:97], v[66:67], v[50:51]
	v_mul_f64_e32 v[98:99], v[64:65], v[50:51]
	s_wait_loadcnt_dscnt 0x504
	v_mul_f64_e32 v[100:101], v[70:71], v[46:47]
	v_mul_f64_e32 v[102:103], v[68:69], v[46:47]
	s_wait_loadcnt_dscnt 0x403
	v_mul_f64_e32 v[104:105], v[74:75], v[41:42]
	s_wait_loadcnt_dscnt 0x302
	v_mul_f64_e32 v[106:107], v[78:79], v[58:59]
	v_mul_f64_e32 v[108:109], v[72:73], v[41:42]
	;; [unrolled: 1-line block ×3, first 2 shown]
	s_wait_loadcnt_dscnt 0x201
	v_mul_f64_e32 v[112:113], v[86:87], v[54:55]
	v_mul_f64_e32 v[114:115], v[84:85], v[54:55]
	scratch_store_b128 off, v[35:38], off offset:28 ; 16-byte Folded Spill
	s_wait_loadcnt 0x1
	s_clause 0x1
	scratch_store_b128 off, v[31:34], off offset:12
	scratch_store_b128 off, v[39:42], off offset:44
	v_fma_f64 v[92:93], v[60:61], v[35:36], -v[92:93]
	v_fma_f64 v[94:95], v[62:63], v[35:36], v[94:95]
	v_fma_f64 v[64:65], v[64:65], v[48:49], -v[96:97]
	v_fma_f64 v[66:67], v[66:67], v[48:49], v[98:99]
	v_fma_f64 v[68:69], v[68:69], v[44:45], -v[100:101]
	v_fma_f64 v[70:71], v[70:71], v[44:45], v[102:103]
	v_fma_f64 v[72:73], v[72:73], v[39:40], -v[104:105]
	v_fma_f64 v[76:77], v[76:77], v[56:57], -v[106:107]
	v_fma_f64 v[74:75], v[74:75], v[39:40], v[108:109]
	v_fma_f64 v[78:79], v[78:79], v[56:57], v[110:111]
	v_fma_f64 v[84:85], v[84:85], v[52:53], -v[112:113]
	v_fma_f64 v[86:87], v[86:87], v[52:53], v[114:115]
	ds_load_b128 v[60:63], v168 offset:9792
	s_wait_dscnt 0x1
	v_mul_f64_e32 v[96:97], v[90:91], v[33:34]
	v_mul_f64_e32 v[98:99], v[88:89], v[33:34]
	v_add_f64_e64 v[104:105], v[92:93], -v[64:65]
	v_add_f64_e64 v[106:107], v[94:95], -v[66:67]
	v_add_f64_e32 v[92:93], v[92:93], v[64:65]
	v_add_f64_e32 v[94:95], v[94:95], v[66:67]
	ds_load_b128 v[64:67], v168
	s_wait_loadcnt_dscnt 0x1
	v_mul_f64_e32 v[100:101], v[62:63], v[253:254]
	v_mul_f64_e32 v[102:103], v[60:61], v[253:254]
	v_add_f64_e32 v[108:109], v[72:73], v[76:77]
	v_add_f64_e64 v[110:111], v[72:73], -v[76:77]
	v_add_f64_e64 v[112:113], v[74:75], -v[78:79]
	v_add_f64_e32 v[114:115], v[68:69], v[84:85]
	v_add_f64_e32 v[116:117], v[70:71], v[86:87]
	;; [unrolled: 1-line block ×3, first 2 shown]
	v_fma_f64 v[88:89], v[88:89], v[31:32], -v[96:97]
	v_fma_f64 v[90:91], v[90:91], v[31:32], v[98:99]
	v_add_f64_e64 v[68:69], v[68:69], -v[84:85]
	v_add_f64_e64 v[70:71], v[70:71], -v[86:87]
	global_wb scope:SCOPE_SE
	s_wait_storecnt_dscnt 0x0
	s_barrier_signal -1
	s_barrier_wait -1
	global_inv scope:SCOPE_SE
	s_wait_alu 0xfffe
	v_mul_f64_e32 v[84:85], s[10:11], v[104:105]
	v_mul_f64_e32 v[86:87], s[10:11], v[106:107]
	v_fma_f64 v[96:97], v[92:93], s[14:15], v[64:65]
	v_fma_f64 v[98:99], v[94:95], s[14:15], v[66:67]
	s_mov_b32 s11, 0xbfe491b7
	v_fma_f64 v[60:61], v[60:61], v[251:252], -v[100:101]
	v_fma_f64 v[62:63], v[62:63], v[251:252], v[102:103]
	v_fma_f64 v[100:101], v[108:109], s[14:15], v[64:65]
	v_mul_f64_e32 v[102:103], s[0:1], v[110:111]
	v_mul_f64_e32 v[120:121], s[0:1], v[112:113]
	v_fma_f64 v[122:123], v[114:115], s[14:15], v[64:65]
	v_fma_f64 v[124:125], v[116:117], s[14:15], v[66:67]
	;; [unrolled: 1-line block ×3, first 2 shown]
	s_wait_alu 0xfffe
	v_mul_f64_e32 v[128:129], s[10:11], v[112:113]
	v_mul_f64_e32 v[130:131], s[10:11], v[110:111]
	v_add_f64_e32 v[136:137], v[114:115], v[92:93]
	v_add_f64_e32 v[138:139], v[116:117], v[94:95]
	s_mov_b32 s14, 0x7e0b738b
	s_mov_b32 s15, 0x3fc63a1a
	v_fma_f64 v[84:85], v[68:69], s[0:1], v[84:85]
	v_fma_f64 v[86:87], v[70:71], s[0:1], v[86:87]
	v_add_f64_e32 v[132:133], v[88:89], v[60:61]
	v_add_f64_e32 v[134:135], v[90:91], v[62:63]
	v_add_f64_e64 v[60:61], v[88:89], -v[60:61]
	v_add_f64_e64 v[62:63], v[90:91], -v[62:63]
	s_wait_alu 0xfffe
	v_fma_f64 v[88:89], v[114:115], s[14:15], v[96:97]
	v_fma_f64 v[90:91], v[116:117], s[14:15], v[98:99]
	;; [unrolled: 1-line block ×3, first 2 shown]
	v_fma_f64 v[98:99], v[68:69], s[10:11], -v[102:103]
	v_fma_f64 v[100:101], v[70:71], s[10:11], -v[120:121]
	v_fma_f64 v[102:103], v[108:109], s[14:15], v[122:123]
	v_fma_f64 v[120:121], v[118:119], s[14:15], v[124:125]
	;; [unrolled: 1-line block ×5, first 2 shown]
	v_add_f64_e32 v[144:145], v[108:109], v[136:137]
	v_add_f64_e32 v[146:147], v[118:119], v[138:139]
	s_mov_b32 s0, 0xe8584cab
	s_mov_b32 s1, 0x3febb67a
	s_mov_b32 s11, 0xbfebb67a
	s_wait_alu 0xfffe
	s_mov_b32 s10, s0
	v_add_f64_e32 v[128:129], v[110:111], v[104:105]
	v_add_f64_e32 v[130:131], v[112:113], v[106:107]
	s_mov_b32 s14, 0x748a0bf8
	s_mov_b32 s15, 0x3fd5e3a8
	v_add_f64_e32 v[136:137], v[132:133], v[136:137]
	v_add_f64_e32 v[138:139], v[134:135], v[138:139]
	v_fma_f64 v[84:85], v[60:61], s[0:1], v[84:85]
	v_fma_f64 v[86:87], v[62:63], s[0:1], v[86:87]
	v_fma_f64 v[88:89], v[132:133], -0.5, v[88:89]
	v_fma_f64 v[90:91], v[134:135], -0.5, v[90:91]
	v_fma_f64 v[96:97], v[132:133], -0.5, v[96:97]
	v_fma_f64 v[98:99], v[60:61], s[0:1], v[98:99]
	v_fma_f64 v[100:101], v[62:63], s[0:1], v[100:101]
	v_fma_f64 v[102:103], v[132:133], -0.5, v[102:103]
	v_fma_f64 v[120:121], v[134:135], -0.5, v[120:121]
	v_add_f64_e32 v[140:141], v[64:65], v[132:133]
	v_add_f64_e32 v[142:143], v[66:67], v[134:135]
	v_fma_f64 v[122:123], v[134:135], -0.5, v[122:123]
	s_wait_alu 0xfffe
	v_fma_f64 v[62:63], v[62:63], s[10:11], v[124:125]
	v_fma_f64 v[60:61], v[60:61], s[10:11], v[126:127]
	v_add_f64_e64 v[124:125], v[128:129], -v[68:69]
	v_add_f64_e64 v[126:127], v[130:131], -v[70:71]
	v_add_f64_e32 v[72:73], v[72:73], v[136:137]
	v_add_f64_e32 v[74:75], v[74:75], v[138:139]
	v_fma_f64 v[110:111], v[110:111], s[14:15], v[84:85]
	v_fma_f64 v[84:85], v[112:113], s[14:15], v[86:87]
	;; [unrolled: 1-line block ×9, first 2 shown]
	v_fma_f64 v[128:129], v[144:145], -0.5, v[140:141]
	v_fma_f64 v[130:131], v[146:147], -0.5, v[142:143]
	v_fma_f64 v[100:101], v[116:117], s[16:17], v[122:123]
	v_fma_f64 v[102:103], v[70:71], s[14:15], v[62:63]
	;; [unrolled: 1-line block ×3, first 2 shown]
	v_mul_f64_e32 v[106:107], s[0:1], v[124:125]
	v_mul_f64_e32 v[108:109], s[0:1], v[126:127]
	v_add_f64_e32 v[112:113], v[76:77], v[72:73]
	v_add_f64_e32 v[114:115], v[78:79], v[74:75]
	;; [unrolled: 1-line block ×3, first 2 shown]
	v_add_f64_e64 v[70:71], v[88:89], -v[110:111]
	v_add_f64_e32 v[72:73], v[98:99], v[92:93]
	v_add_f64_e64 v[74:75], v[94:95], -v[96:97]
	v_fma_f64 v[60:61], v[126:127], s[0:1], v[128:129]
	v_fma_f64 v[62:63], v[124:125], s[10:11], v[130:131]
	v_cmp_gt_u16_e64 s0, 51, v169
	v_add_f64_e32 v[76:77], v[102:103], v[90:91]
	v_add_f64_e64 v[78:79], v[100:101], -v[104:105]
	v_add_f64_e32 v[64:65], v[64:65], v[112:113]
	v_add_f64_e32 v[66:67], v[66:67], v[114:115]
	v_fma_f64 v[84:85], v[84:85], -2.0, v[68:69]
	v_fma_f64 v[86:87], v[110:111], 2.0, v[70:71]
	v_fma_f64 v[92:93], v[98:99], -2.0, v[72:73]
	v_fma_f64 v[94:95], v[96:97], 2.0, v[74:75]
	;; [unrolled: 2-line block ×4, first 2 shown]
	ds_store_b128 v246, v[64:67]
	ds_store_b128 v246, v[68:71] offset:272
	ds_store_b128 v246, v[76:79] offset:544
	;; [unrolled: 1-line block ×8, first 2 shown]
	global_wb scope:SCOPE_SE
	s_wait_dscnt 0x0
	s_barrier_signal -1
	s_barrier_wait -1
	global_inv scope:SCOPE_SE
	ds_load_b128 v[92:95], v168
	ds_load_b128 v[96:99], v168 offset:1632
	ds_load_b128 v[108:111], v168 offset:7344
	;; [unrolled: 1-line block ×7, first 2 shown]
	s_and_saveexec_b32 s1, s0
	s_cbranch_execz .LBB0_9
; %bb.8:
	ds_load_b128 v[84:87], v168 offset:6528
	ds_load_b128 v[80:83], v168 offset:13872
.LBB0_9:
	s_wait_alu 0xfffe
	s_or_b32 exec_lo, exec_lo, s1
	v_add_nc_u32_e32 v28, 0x132, v169
	v_add_co_u32 v120, s1, 0x66, v169
	s_wait_alu 0xf1ff
	v_add_co_ci_u32_e64 v30, null, 0, 0, s1
	s_delay_alu instid0(VALU_DEP_3) | instskip(SKIP_3) | instid1(VALU_DEP_3)
	v_and_b32_e32 v29, 0xffff, v28
	v_add_co_u32 v31, s1, 0xffffffcd, v169
	s_wait_alu 0xf1ff
	v_add_co_ci_u32_e64 v32, null, 0, -1, s1
	v_mul_u32_u24_e32 v29, 0x358b, v29
	s_delay_alu instid0(VALU_DEP_3) | instskip(SKIP_3) | instid1(VALU_DEP_2)
	v_cndmask_b32_e64 v125, v31, v120, s0
	global_load_b128 v[72:75], v168, s[2:3] offset:2176
	v_cndmask_b32_e64 v126, v32, v30, s0
	v_lshrrev_b32_e32 v29, 21, v29
	v_lshlrev_b64_e32 v[60:61], 4, v[125:126]
	s_delay_alu instid0(VALU_DEP_2) | instskip(NEXT) | instid1(VALU_DEP_2)
	v_mul_lo_u16 v29, 0x99, v29
	v_add_co_u32 v60, s1, s2, v60
	s_delay_alu instid0(VALU_DEP_2) | instskip(SKIP_1) | instid1(VALU_DEP_4)
	v_sub_nc_u16 v28, v28, v29
	s_wait_alu 0xf1ff
	v_add_co_ci_u32_e64 v61, s1, s3, v61, s1
	s_clause 0x1
	global_load_b128 v[76:79], v[60:61], off offset:2176
	global_load_b128 v[64:67], v168, s[2:3] offset:2992
	v_and_b32_e32 v28, 0xffff, v28
	v_cmp_lt_u16_e64 s1, 50, v169
	s_delay_alu instid0(VALU_DEP_2) | instskip(SKIP_3) | instid1(VALU_DEP_1)
	v_lshlrev_b32_e32 v245, 4, v28
	v_add_nc_u32_e32 v28, 0x198, v169
	global_load_b128 v[68:71], v245, s[2:3] offset:2176
	v_and_b32_e32 v29, 0xffff, v28
	v_mul_u32_u24_e32 v29, 0x358b, v29
	s_delay_alu instid0(VALU_DEP_1) | instskip(NEXT) | instid1(VALU_DEP_1)
	v_lshrrev_b32_e32 v29, 21, v29
	v_mul_lo_u16 v29, 0x99, v29
	s_delay_alu instid0(VALU_DEP_1) | instskip(NEXT) | instid1(VALU_DEP_1)
	v_sub_nc_u16 v28, v28, v29
	v_and_b32_e32 v28, 0xffff, v28
	s_delay_alu instid0(VALU_DEP_1)
	v_lshlrev_b32_e32 v229, 4, v28
	global_load_b128 v[28:31], v229, s[2:3] offset:2176
	s_wait_loadcnt_dscnt 0x405
	v_mul_f64_e32 v[121:122], v[110:111], v[74:75]
	v_mul_f64_e32 v[123:124], v[108:109], v[74:75]
	s_wait_loadcnt_dscnt 0x304
	v_mul_f64_e32 v[126:127], v[106:107], v[78:79]
	s_wait_loadcnt_dscnt 0x201
	v_mul_f64_e32 v[130:131], v[118:119], v[66:67]
	v_mul_f64_e32 v[132:133], v[116:117], v[66:67]
	;; [unrolled: 1-line block ×3, first 2 shown]
	s_wait_loadcnt_dscnt 0x100
	v_mul_f64_e32 v[134:135], v[114:115], v[70:71]
	v_mul_f64_e32 v[136:137], v[112:113], v[70:71]
	v_fma_f64 v[108:109], v[108:109], v[72:73], -v[121:122]
	v_fma_f64 v[110:111], v[110:111], v[72:73], v[123:124]
	v_fma_f64 v[121:122], v[104:105], v[76:77], -v[126:127]
	v_fma_f64 v[116:117], v[116:117], v[64:65], -v[130:131]
	v_fma_f64 v[118:119], v[118:119], v[64:65], v[132:133]
	v_fma_f64 v[123:124], v[106:107], v[76:77], v[128:129]
	s_wait_loadcnt 0x0
	v_mul_f64_e32 v[130:131], v[82:83], v[30:31]
	v_mul_f64_e32 v[132:133], v[80:81], v[30:31]
	v_fma_f64 v[126:127], v[112:113], v[68:69], -v[134:135]
	v_fma_f64 v[128:129], v[114:115], v[68:69], v[136:137]
	scratch_store_b128 off, v[28:31], off offset:64 ; 16-byte Folded Spill
	global_wb scope:SCOPE_SE
	s_wait_storecnt 0x0
	s_barrier_signal -1
	s_barrier_wait -1
	global_inv scope:SCOPE_SE
	v_add_f64_e64 v[104:105], v[92:93], -v[108:109]
	v_add_f64_e64 v[106:107], v[94:95], -v[110:111]
	v_add_f64_e64 v[112:113], v[96:97], -v[121:122]
	v_add_f64_e64 v[116:117], v[100:101], -v[116:117]
	v_add_f64_e64 v[118:119], v[102:103], -v[118:119]
	v_add_f64_e64 v[114:115], v[98:99], -v[123:124]
	v_fma_f64 v[80:81], v[80:81], v[28:29], -v[130:131]
	v_fma_f64 v[82:83], v[82:83], v[28:29], v[132:133]
	v_add_f64_e64 v[121:122], v[88:89], -v[126:127]
	v_add_f64_e64 v[123:124], v[90:91], -v[128:129]
	s_wait_alu 0xf1ff
	v_cndmask_b32_e64 v28, 0, 0x132, s1
	v_fma_f64 v[92:93], v[92:93], 2.0, -v[104:105]
	v_fma_f64 v[94:95], v[94:95], 2.0, -v[106:107]
	s_delay_alu instid0(VALU_DEP_3)
	v_add_lshl_u32 v255, v125, v28, 4
	v_fma_f64 v[96:97], v[96:97], 2.0, -v[112:113]
	v_fma_f64 v[100:101], v[100:101], 2.0, -v[116:117]
	;; [unrolled: 1-line block ×4, first 2 shown]
	v_add_f64_e64 v[108:109], v[84:85], -v[80:81]
	v_add_f64_e64 v[110:111], v[86:87], -v[82:83]
	v_fma_f64 v[88:89], v[88:89], 2.0, -v[121:122]
	v_fma_f64 v[90:91], v[90:91], 2.0, -v[123:124]
	v_add_co_u32 v80, s1, s2, v168
	s_wait_alu 0xf1ff
	v_add_co_ci_u32_e64 v81, null, s3, 0, s1
	ds_store_b128 v168, v[92:95]
	ds_store_b128 v168, v[104:107] offset:2448
	ds_store_b128 v255, v[96:99]
	ds_store_b128 v255, v[112:115] offset:2448
	ds_store_b128 v168, v[100:103] offset:5712
	;; [unrolled: 1-line block ×5, first 2 shown]
	s_and_saveexec_b32 s1, s0
	s_cbranch_execz .LBB0_11
; %bb.10:
	v_fma_f64 v[86:87], v[86:87], 2.0, -v[110:111]
	v_fma_f64 v[84:85], v[84:85], 2.0, -v[108:109]
	ds_store_b128 v229, v[84:87] offset:9792
	ds_store_b128 v229, v[108:111] offset:12240
.LBB0_11:
	s_wait_alu 0xfffe
	s_or_b32 exec_lo, exec_lo, s1
	v_add_co_u32 v80, s1, v80, v168
	s_wait_alu 0xf1ff
	v_add_co_ci_u32_e64 v81, s1, 0, v81, s1
	v_lshlrev_b32_e32 v28, 5, v120
	v_lshl_add_u32 v29, v169, 5, 0x1980
	global_wb scope:SCOPE_SE
	s_wait_dscnt 0x0
	s_barrier_signal -1
	s_barrier_wait -1
	global_inv scope:SCOPE_SE
	s_clause 0x5
	global_load_b128 v[84:87], v[80:81], off offset:4624
	global_load_b128 v[80:83], v[80:81], off offset:4640
	global_load_b128 v[92:95], v28, s[2:3] offset:4624
	global_load_b128 v[88:91], v28, s[2:3] offset:4640
	;; [unrolled: 1-line block ×4, first 2 shown]
	ds_load_b128 v[104:107], v168 offset:4896
	ds_load_b128 v[112:115], v168 offset:9792
	;; [unrolled: 1-line block ×7, first 2 shown]
	s_mov_b32 s2, 0xe8584caa
	s_mov_b32 s3, 0x3febb67a
	s_wait_alu 0xfffe
	s_mov_b32 s10, s2
	s_wait_loadcnt_dscnt 0x304
	v_mul_f64_e32 v[144:145], v[118:119], v[94:95]
	v_mul_f64_e32 v[136:137], v[106:107], v[86:87]
	;; [unrolled: 1-line block ×5, first 2 shown]
	s_wait_loadcnt_dscnt 0x203
	v_mul_f64_e32 v[146:147], v[122:123], v[90:91]
	v_mul_f64_e32 v[148:149], v[116:117], v[94:95]
	v_mul_f64_e32 v[150:151], v[120:121], v[90:91]
	s_wait_loadcnt_dscnt 0x102
	v_mul_f64_e32 v[152:153], v[126:127], v[102:103]
	s_wait_loadcnt_dscnt 0x1
	v_mul_f64_e32 v[154:155], v[130:131], v[98:99]
	v_mul_f64_e32 v[156:157], v[124:125], v[102:103]
	;; [unrolled: 1-line block ×3, first 2 shown]
	v_fma_f64 v[116:117], v[116:117], v[92:93], -v[144:145]
	v_fma_f64 v[136:137], v[104:105], v[84:85], -v[136:137]
	;; [unrolled: 1-line block ×3, first 2 shown]
	v_fma_f64 v[140:141], v[106:107], v[84:85], v[140:141]
	v_fma_f64 v[142:143], v[114:115], v[80:81], v[142:143]
	v_fma_f64 v[120:121], v[120:121], v[88:89], -v[146:147]
	v_fma_f64 v[118:119], v[118:119], v[92:93], v[148:149]
	v_fma_f64 v[122:123], v[122:123], v[88:89], v[150:151]
	v_fma_f64 v[124:125], v[124:125], v[100:101], -v[152:153]
	v_fma_f64 v[128:129], v[128:129], v[96:97], -v[154:155]
	v_fma_f64 v[126:127], v[126:127], v[100:101], v[156:157]
	v_fma_f64 v[130:131], v[130:131], v[96:97], v[158:159]
	ds_load_b128 v[104:107], v168
	ds_load_b128 v[112:115], v168 offset:1632
	s_wait_dscnt 0x0
	v_add_f64_e32 v[160:161], v[112:113], v[116:117]
	v_add_f64_e32 v[156:157], v[104:105], v[136:137]
	;; [unrolled: 1-line block ×3, first 2 shown]
	v_add_f64_e64 v[171:172], v[136:137], -v[138:139]
	v_add_f64_e32 v[146:147], v[140:141], v[142:143]
	v_add_f64_e32 v[148:149], v[116:117], v[120:121]
	v_add_f64_e64 v[158:159], v[140:141], -v[142:143]
	v_add_f64_e32 v[150:151], v[118:119], v[122:123]
	v_add_f64_e32 v[140:141], v[106:107], v[140:141]
	;; [unrolled: 1-line block ×7, first 2 shown]
	v_add_f64_e64 v[118:119], v[118:119], -v[122:123]
	v_add_f64_e64 v[116:117], v[116:117], -v[120:121]
	v_add_f64_e32 v[136:137], v[160:161], v[120:121]
	v_fma_f64 v[169:170], v[144:145], -0.5, v[104:105]
	v_add_f64_e32 v[104:105], v[156:157], v[138:139]
	v_fma_f64 v[173:174], v[146:147], -0.5, v[106:107]
	v_fma_f64 v[112:113], v[148:149], -0.5, v[112:113]
	v_add_f64_e64 v[148:149], v[126:127], -v[130:131]
	v_fma_f64 v[114:115], v[150:151], -0.5, v[114:115]
	v_add_f64_e32 v[106:107], v[140:141], v[142:143]
	v_fma_f64 v[150:151], v[152:153], -0.5, v[132:133]
	v_add_f64_e64 v[152:153], v[124:125], -v[128:129]
	v_fma_f64 v[154:155], v[154:155], -0.5, v[134:135]
	v_add_f64_e32 v[138:139], v[162:163], v[122:123]
	v_add_f64_e32 v[124:125], v[164:165], v[128:129]
	;; [unrolled: 1-line block ×3, first 2 shown]
	v_fma_f64 v[144:145], v[158:159], s[2:3], v[169:170]
	s_wait_alu 0xfffe
	v_fma_f64 v[140:141], v[158:159], s[10:11], v[169:170]
	v_fma_f64 v[146:147], v[171:172], s[10:11], v[173:174]
	;; [unrolled: 1-line block ×11, first 2 shown]
	ds_store_b128 v168, v[104:107]
	ds_store_b128 v168, v[136:139] offset:1632
	ds_store_b128 v168, v[140:143] offset:9792
	;; [unrolled: 1-line block ×8, first 2 shown]
	global_wb scope:SCOPE_SE
	s_wait_dscnt 0x0
	s_barrier_signal -1
	s_barrier_wait -1
	global_inv scope:SCOPE_SE
	s_and_saveexec_b32 s1, vcc_lo
	s_cbranch_execz .LBB0_13
; %bb.12:
	global_load_b128 v[112:115], v168, s[8:9] offset:14688
	s_add_nc_u64 s[2:3], s[8:9], 0x3960
	s_clause 0x8
	global_load_b128 v[148:151], v168, s[2:3] offset:864
	global_load_b128 v[152:155], v168, s[2:3] offset:1728
	;; [unrolled: 1-line block ×9, first 2 shown]
	ds_load_b128 v[185:188], v168
	global_load_b128 v[189:192], v168, s[2:3] offset:8640
	ds_load_b128 v[193:196], v168 offset:864
	ds_load_b128 v[197:200], v168 offset:13824
	s_wait_loadcnt_dscnt 0x901
	v_mul_f64_e32 v[205:206], v[195:196], v[150:151]
	v_mul_f64_e32 v[150:151], v[193:194], v[150:151]
	v_mul_f64_e32 v[201:202], v[187:188], v[114:115]
	v_mul_f64_e32 v[114:115], v[185:186], v[114:115]
	s_delay_alu instid0(VALU_DEP_4) | instskip(NEXT) | instid1(VALU_DEP_4)
	v_fma_f64 v[193:194], v[193:194], v[148:149], -v[205:206]
	v_fma_f64 v[195:196], v[195:196], v[148:149], v[150:151]
	s_delay_alu instid0(VALU_DEP_4) | instskip(NEXT) | instid1(VALU_DEP_4)
	v_fma_f64 v[185:186], v[185:186], v[112:113], -v[201:202]
	v_fma_f64 v[187:188], v[187:188], v[112:113], v[114:115]
	ds_load_b128 v[112:115], v168 offset:1728
	ds_load_b128 v[201:204], v168 offset:2592
	s_wait_loadcnt_dscnt 0x801
	v_mul_f64_e32 v[148:149], v[114:115], v[154:155]
	v_mul_f64_e32 v[150:151], v[112:113], v[154:155]
	s_wait_loadcnt_dscnt 0x700
	v_mul_f64_e32 v[205:206], v[203:204], v[158:159]
	v_mul_f64_e32 v[158:159], v[201:202], v[158:159]
	s_delay_alu instid0(VALU_DEP_4) | instskip(NEXT) | instid1(VALU_DEP_4)
	v_fma_f64 v[112:113], v[112:113], v[152:153], -v[148:149]
	v_fma_f64 v[114:115], v[114:115], v[152:153], v[150:151]
	ds_load_b128 v[148:151], v168 offset:3456
	ds_load_b128 v[152:155], v168 offset:4320
	v_fma_f64 v[201:202], v[201:202], v[156:157], -v[205:206]
	v_fma_f64 v[203:204], v[203:204], v[156:157], v[158:159]
	s_wait_loadcnt_dscnt 0x601
	v_mul_f64_e32 v[156:157], v[150:151], v[162:163]
	v_mul_f64_e32 v[158:159], v[148:149], v[162:163]
	s_wait_loadcnt_dscnt 0x500
	v_mul_f64_e32 v[205:206], v[154:155], v[166:167]
	v_mul_f64_e32 v[166:167], v[152:153], v[166:167]
	s_delay_alu instid0(VALU_DEP_4) | instskip(NEXT) | instid1(VALU_DEP_4)
	v_fma_f64 v[148:149], v[148:149], v[160:161], -v[156:157]
	v_fma_f64 v[150:151], v[150:151], v[160:161], v[158:159]
	ds_load_b128 v[156:159], v168 offset:5184
	ds_load_b128 v[160:163], v168 offset:6048
	v_fma_f64 v[152:153], v[152:153], v[164:165], -v[205:206]
	v_fma_f64 v[154:155], v[154:155], v[164:165], v[166:167]
	;; [unrolled: 13-line block ×3, first 2 shown]
	s_wait_loadcnt_dscnt 0x201
	v_mul_f64_e32 v[173:174], v[166:167], v[179:180]
	v_mul_f64_e32 v[175:176], v[164:165], v[179:180]
	s_wait_loadcnt_dscnt 0x100
	v_mul_f64_e32 v[205:206], v[171:172], v[183:184]
	v_mul_f64_e32 v[183:184], v[169:170], v[183:184]
	s_delay_alu instid0(VALU_DEP_4) | instskip(NEXT) | instid1(VALU_DEP_4)
	v_fma_f64 v[164:165], v[164:165], v[177:178], -v[173:174]
	v_fma_f64 v[166:167], v[166:167], v[177:178], v[175:176]
	ds_load_b128 v[177:180], v168 offset:8640
	global_load_b128 v[173:176], v168, s[2:3] offset:9504
	v_fma_f64 v[169:170], v[169:170], v[181:182], -v[205:206]
	v_fma_f64 v[171:172], v[171:172], v[181:182], v[183:184]
	ds_load_b128 v[181:184], v168 offset:9504
	s_wait_loadcnt_dscnt 0x101
	v_mul_f64_e32 v[205:206], v[179:180], v[191:192]
	v_mul_f64_e32 v[191:192], v[177:178], v[191:192]
	s_delay_alu instid0(VALU_DEP_2) | instskip(NEXT) | instid1(VALU_DEP_2)
	v_fma_f64 v[177:178], v[177:178], v[189:190], -v[205:206]
	v_fma_f64 v[179:180], v[179:180], v[189:190], v[191:192]
	global_load_b128 v[189:192], v168, s[2:3] offset:10368
	s_wait_loadcnt_dscnt 0x100
	v_mul_f64_e32 v[205:206], v[183:184], v[175:176]
	v_mul_f64_e32 v[175:176], v[181:182], v[175:176]
	s_delay_alu instid0(VALU_DEP_2) | instskip(NEXT) | instid1(VALU_DEP_2)
	v_fma_f64 v[181:182], v[181:182], v[173:174], -v[205:206]
	v_fma_f64 v[183:184], v[183:184], v[173:174], v[175:176]
	ds_load_b128 v[173:176], v168 offset:10368
	ds_load_b128 v[205:208], v168 offset:11232
	s_wait_loadcnt_dscnt 0x1
	v_mul_f64_e32 v[209:210], v[175:176], v[191:192]
	v_mul_f64_e32 v[191:192], v[173:174], v[191:192]
	s_delay_alu instid0(VALU_DEP_2) | instskip(NEXT) | instid1(VALU_DEP_2)
	v_fma_f64 v[173:174], v[173:174], v[189:190], -v[209:210]
	v_fma_f64 v[175:176], v[175:176], v[189:190], v[191:192]
	s_clause 0x1
	global_load_b128 v[189:192], v168, s[2:3] offset:11232
	global_load_b128 v[209:212], v168, s[2:3] offset:12096
	s_wait_loadcnt_dscnt 0x100
	v_mul_f64_e32 v[213:214], v[207:208], v[191:192]
	v_mul_f64_e32 v[191:192], v[205:206], v[191:192]
	s_delay_alu instid0(VALU_DEP_2) | instskip(NEXT) | instid1(VALU_DEP_2)
	v_fma_f64 v[205:206], v[205:206], v[189:190], -v[213:214]
	v_fma_f64 v[207:208], v[207:208], v[189:190], v[191:192]
	ds_load_b128 v[189:192], v168 offset:12096
	ds_load_b128 v[213:216], v168 offset:12960
	s_wait_loadcnt_dscnt 0x1
	v_mul_f64_e32 v[217:218], v[191:192], v[211:212]
	v_mul_f64_e32 v[211:212], v[189:190], v[211:212]
	s_delay_alu instid0(VALU_DEP_2) | instskip(NEXT) | instid1(VALU_DEP_2)
	v_fma_f64 v[189:190], v[189:190], v[209:210], -v[217:218]
	v_fma_f64 v[191:192], v[191:192], v[209:210], v[211:212]
	s_clause 0x1
	global_load_b128 v[209:212], v168, s[2:3] offset:12960
	global_load_b128 v[217:220], v168, s[2:3] offset:13824
	s_wait_loadcnt_dscnt 0x100
	v_mul_f64_e32 v[221:222], v[215:216], v[211:212]
	v_mul_f64_e32 v[223:224], v[213:214], v[211:212]
	s_delay_alu instid0(VALU_DEP_2) | instskip(NEXT) | instid1(VALU_DEP_2)
	v_fma_f64 v[211:212], v[213:214], v[209:210], -v[221:222]
	v_fma_f64 v[213:214], v[215:216], v[209:210], v[223:224]
	s_wait_loadcnt 0x0
	v_mul_f64_e32 v[209:210], v[199:200], v[219:220]
	v_mul_f64_e32 v[215:216], v[197:198], v[219:220]
	s_delay_alu instid0(VALU_DEP_2) | instskip(NEXT) | instid1(VALU_DEP_2)
	v_fma_f64 v[197:198], v[197:198], v[217:218], -v[209:210]
	v_fma_f64 v[199:200], v[199:200], v[217:218], v[215:216]
	ds_store_b128 v168, v[185:188]
	ds_store_b128 v168, v[193:196] offset:864
	ds_store_b128 v168, v[112:115] offset:1728
	;; [unrolled: 1-line block ×16, first 2 shown]
.LBB0_13:
	s_wait_alu 0xfffe
	s_or_b32 exec_lo, exec_lo, s1
	global_wb scope:SCOPE_SE
	s_wait_dscnt 0x0
	s_barrier_signal -1
	s_barrier_wait -1
	global_inv scope:SCOPE_SE
	s_and_saveexec_b32 s1, vcc_lo
	s_cbranch_execz .LBB0_15
; %bb.14:
	ds_load_b128 v[104:107], v168
	ds_load_b128 v[144:147], v168 offset:864
	ds_load_b128 v[140:143], v168 offset:1728
	;; [unrolled: 1-line block ×16, first 2 shown]
.LBB0_15:
	s_wait_alu 0xfffe
	s_or_b32 exec_lo, exec_lo, s1
	s_wait_dscnt 0x0
	v_add_f64_e64 v[207:208], v[146:147], -v[2:3]
	s_mov_b32 s16, 0xacd6c6b4
	s_mov_b32 s17, 0xbfc7851a
	v_add_f64_e32 v[205:206], v[144:145], v[0:1]
	v_add_f64_e64 v[203:204], v[142:143], -v[6:7]
	s_mov_b32 s2, 0x7faef3
	s_mov_b32 s18, 0x5d8e7cdc
	;; [unrolled: 1-line block ×4, first 2 shown]
	v_add_f64_e32 v[148:149], v[140:141], v[4:5]
	v_add_f64_e32 v[221:222], v[146:147], v[2:3]
	s_mov_b32 s10, 0x370991
	s_mov_b32 s11, 0x3fedd6d0
	v_add_f64_e64 v[223:224], v[144:145], -v[0:1]
	v_add_f64_e32 v[150:151], v[142:143], v[6:7]
	v_add_f64_e64 v[32:33], v[140:141], -v[4:5]
	v_add_f64_e64 v[30:31], v[138:139], -v[10:11]
	s_mov_b32 s24, 0x4363dd80
	s_mov_b32 s25, 0xbfe0d888
	;; [unrolled: 1-line block ×4, first 2 shown]
	v_add_f64_e64 v[36:37], v[136:137], -v[8:9]
	v_add_f64_e64 v[34:35], v[134:135], -v[14:15]
	s_mov_b32 s28, 0x2a9d6da3
	s_mov_b32 s29, 0x3fe58eea
	;; [unrolled: 1-line block ×4, first 2 shown]
	v_add_f64_e64 v[193:194], v[132:133], -v[12:13]
	v_add_f64_e64 v[201:202], v[130:131], -v[18:19]
	s_mov_b32 s22, 0x6ed5f1bb
	s_mov_b32 s23, 0xbfe348c8
	v_add_f64_e64 v[197:198], v[128:129], -v[16:17]
	v_add_f64_e64 v[60:61], v[126:127], -v[22:23]
	s_mov_b32 s38, 0x7c9e640b
	s_mov_b32 s39, 0x3feca52d
	;; [unrolled: 1-line block ×4, first 2 shown]
	v_add_f64_e64 v[28:29], v[124:125], -v[20:21]
	s_wait_alu 0xfffe
	v_mul_f64_e32 v[211:212], s[16:17], v[207:208]
	v_add_f64_e64 v[62:63], v[122:123], -v[26:27]
	s_mov_b32 s40, 0x923c349f
	s_mov_b32 s41, 0xbfeec746
	v_mul_f64_e32 v[40:41], s[18:19], v[203:204]
	s_mov_b32 s30, 0xc61f0d01
	s_mov_b32 s31, 0xbfd183b1
	v_add_f64_e64 v[38:39], v[120:121], -v[24:25]
	v_add_f64_e64 v[169:170], v[118:119], -v[110:111]
	s_mov_b32 s42, 0xeb564b22
	v_mul_f64_e32 v[162:163], s[2:3], v[221:222]
	s_mov_b32 s43, 0x3fefdd0d
	s_mov_b32 s34, 0x3259b75e
	;; [unrolled: 1-line block ×3, first 2 shown]
	v_mul_f64_e32 v[215:216], s[10:11], v[150:151]
	v_add_f64_e64 v[42:43], v[116:117], -v[108:109]
	v_mul_f64_e32 v[213:214], s[24:25], v[30:31]
	global_wb scope:SCOPE_SE
	s_barrier_signal -1
	s_barrier_wait -1
	global_inv scope:SCOPE_SE
	v_mul_f64_e32 v[219:220], s[28:29], v[34:35]
	v_mul_f64_e32 v[225:226], s[36:37], v[201:202]
	;; [unrolled: 1-line block ×3, first 2 shown]
	v_fma_f64 v[112:113], v[205:206], s[2:3], -v[211:212]
	s_wait_alu 0xfffe
	v_mul_f64_e32 v[235:236], s[40:41], v[62:63]
	v_fma_f64 v[114:115], v[148:149], s[10:11], -v[40:41]
	v_mul_f64_e32 v[239:240], s[42:43], v[169:170]
	v_fma_f64 v[152:153], v[32:33], s[18:19], v[215:216]
	v_add_f64_e32 v[112:113], v[104:105], v[112:113]
	s_delay_alu instid0(VALU_DEP_1) | instskip(SKIP_1) | instid1(VALU_DEP_1)
	v_add_f64_e32 v[112:113], v[114:115], v[112:113]
	v_fma_f64 v[114:115], v[223:224], s[16:17], v[162:163]
	v_add_f64_e32 v[114:115], v[106:107], v[114:115]
	s_delay_alu instid0(VALU_DEP_1) | instskip(SKIP_1) | instid1(VALU_DEP_1)
	v_add_f64_e32 v[114:115], v[152:153], v[114:115]
	v_add_f64_e32 v[152:153], v[136:137], v[8:9]
	v_fma_f64 v[154:155], v[152:153], s[14:15], -v[213:214]
	s_delay_alu instid0(VALU_DEP_1) | instskip(SKIP_1) | instid1(VALU_DEP_1)
	v_add_f64_e32 v[112:113], v[154:155], v[112:113]
	v_add_f64_e32 v[154:155], v[138:139], v[10:11]
	v_mul_f64_e32 v[217:218], s[14:15], v[154:155]
	s_delay_alu instid0(VALU_DEP_1) | instskip(NEXT) | instid1(VALU_DEP_1)
	v_fma_f64 v[156:157], v[36:37], s[24:25], v[217:218]
	v_add_f64_e32 v[114:115], v[156:157], v[114:115]
	v_add_f64_e32 v[156:157], v[132:133], v[12:13]
	s_delay_alu instid0(VALU_DEP_1) | instskip(NEXT) | instid1(VALU_DEP_1)
	v_fma_f64 v[158:159], v[156:157], s[20:21], -v[219:220]
	v_add_f64_e32 v[112:113], v[158:159], v[112:113]
	v_add_f64_e32 v[158:159], v[134:135], v[14:15]
	s_delay_alu instid0(VALU_DEP_1) | instskip(NEXT) | instid1(VALU_DEP_1)
	v_mul_f64_e32 v[227:228], s[20:21], v[158:159]
	v_fma_f64 v[160:161], v[193:194], s[28:29], v[227:228]
	s_delay_alu instid0(VALU_DEP_1) | instskip(SKIP_1) | instid1(VALU_DEP_1)
	v_add_f64_e32 v[114:115], v[160:161], v[114:115]
	v_add_f64_e32 v[160:161], v[128:129], v[16:17]
	v_fma_f64 v[164:165], v[160:161], s[22:23], -v[225:226]
	s_delay_alu instid0(VALU_DEP_1) | instskip(SKIP_1) | instid1(VALU_DEP_1)
	v_add_f64_e32 v[112:113], v[164:165], v[112:113]
	v_add_f64_e32 v[164:165], v[130:131], v[18:19]
	v_mul_f64_e32 v[233:234], s[22:23], v[164:165]
	s_delay_alu instid0(VALU_DEP_1) | instskip(NEXT) | instid1(VALU_DEP_1)
	v_fma_f64 v[166:167], v[197:198], s[36:37], v[233:234]
	v_add_f64_e32 v[114:115], v[166:167], v[114:115]
	v_add_f64_e32 v[166:167], v[124:125], v[20:21]
	s_delay_alu instid0(VALU_DEP_1) | instskip(NEXT) | instid1(VALU_DEP_1)
	v_fma_f64 v[173:174], v[166:167], s[26:27], -v[231:232]
	v_add_f64_e32 v[112:113], v[173:174], v[112:113]
	v_add_f64_e32 v[173:174], v[126:127], v[22:23]
	s_delay_alu instid0(VALU_DEP_1) | instskip(NEXT) | instid1(VALU_DEP_1)
	v_mul_f64_e32 v[237:238], s[26:27], v[173:174]
	v_fma_f64 v[175:176], v[28:29], s[38:39], v[237:238]
	;; [unrolled: 19-line block ×3, first 2 shown]
	s_delay_alu instid0(VALU_DEP_1)
	v_add_f64_e32 v[114:115], v[249:250], v[114:115]
	s_and_saveexec_b32 s1, vcc_lo
	s_cbranch_execz .LBB0_17
; %bb.16:
	v_add_f64_e32 v[146:147], v[106:107], v[146:147]
	v_add_f64_e32 v[144:145], v[104:105], v[144:145]
	s_mov_b32 s47, 0xbfefdd0d
	s_mov_b32 s46, s42
	s_mov_b32 s45, 0xbfeca52d
	s_mov_b32 s44, s38
	s_mov_b32 s53, 0xbfe58eea
	s_mov_b32 s52, s28
	s_mov_b32 s49, 0xbfd71e95
	s_mov_b32 s48, s18
	s_mov_b32 s51, 0x3fe9895b
	s_mov_b32 s50, s36
	s_mov_b32 s55, 0x3feec746
	s_mov_b32 s54, s40
	s_mov_b32 s57, 0x3fe0d888
	s_mov_b32 s56, s24
	v_mul_f64_e32 v[209:210], s[36:37], v[169:170]
	v_mul_f64_e32 v[247:248], s[56:57], v[201:202]
	;; [unrolled: 1-line block ×7, first 2 shown]
	v_add_f64_e32 v[142:143], v[146:147], v[142:143]
	v_add_f64_e32 v[140:141], v[144:145], v[140:141]
	s_delay_alu instid0(VALU_DEP_2) | instskip(NEXT) | instid1(VALU_DEP_2)
	v_add_f64_e32 v[138:139], v[142:143], v[138:139]
	v_add_f64_e32 v[136:137], v[140:141], v[136:137]
	s_delay_alu instid0(VALU_DEP_2) | instskip(NEXT) | instid1(VALU_DEP_2)
	;; [unrolled: 3-line block ×3, first 2 shown]
	v_add_f64_e32 v[130:131], v[134:135], v[130:131]
	v_add_f64_e32 v[128:129], v[132:133], v[128:129]
	s_wait_alu 0xfffe
	v_mul_f64_e32 v[132:133], s[48:49], v[207:208]
	s_delay_alu instid0(VALU_DEP_3) | instskip(NEXT) | instid1(VALU_DEP_3)
	v_add_f64_e32 v[126:127], v[130:131], v[126:127]
	v_add_f64_e32 v[124:125], v[128:129], v[124:125]
	v_mul_f64_e32 v[128:129], s[44:45], v[207:208]
	v_mul_f64_e32 v[130:131], s[52:53], v[207:208]
	v_fma_f64 v[146:147], v[205:206], s[10:11], v[132:133]
	v_fma_f64 v[132:133], v[205:206], s[10:11], -v[132:133]
	v_add_f64_e32 v[122:123], v[126:127], v[122:123]
	v_add_f64_e32 v[120:121], v[124:125], v[120:121]
	v_mul_f64_e32 v[126:127], s[46:47], v[207:208]
	v_fma_f64 v[142:143], v[205:206], s[26:27], v[128:129]
	v_fma_f64 v[128:129], v[205:206], s[26:27], -v[128:129]
	v_mul_f64_e32 v[124:125], s[40:41], v[207:208]
	v_fma_f64 v[144:145], v[205:206], s[20:21], v[130:131]
	v_fma_f64 v[130:131], v[205:206], s[20:21], -v[130:131]
	v_add_f64_e32 v[118:119], v[122:123], v[118:119]
	v_add_f64_e32 v[116:117], v[120:121], v[116:117]
	v_fma_f64 v[140:141], v[205:206], s[34:35], -v[126:127]
	v_mul_f64_e32 v[120:121], s[24:25], v[207:208]
	v_mul_f64_e32 v[122:123], s[36:37], v[207:208]
	v_fma_f64 v[138:139], v[205:206], s[30:31], -v[124:125]
	v_fma_f64 v[124:125], v[205:206], s[30:31], v[124:125]
	v_fma_f64 v[126:127], v[205:206], s[34:35], v[126:127]
	v_add_f64_e32 v[144:145], v[104:105], v[144:145]
	v_add_f64_e32 v[142:143], v[104:105], v[142:143]
	;; [unrolled: 1-line block ×4, first 2 shown]
	v_fma_f64 v[134:135], v[205:206], s[14:15], -v[120:121]
	v_fma_f64 v[120:121], v[205:206], s[14:15], v[120:121]
	v_fma_f64 v[136:137], v[205:206], s[22:23], -v[122:123]
	v_fma_f64 v[122:123], v[205:206], s[22:23], v[122:123]
	v_add_f64_e32 v[138:139], v[104:105], v[138:139]
	v_add_f64_e32 v[124:125], v[104:105], v[124:125]
	;; [unrolled: 1-line block ×10, first 2 shown]
	s_delay_alu instid0(VALU_DEP_2) | instskip(NEXT) | instid1(VALU_DEP_2)
	v_add_f64_e32 v[18:19], v[22:23], v[18:19]
	v_add_f64_e32 v[16:17], v[20:21], v[16:17]
	v_mul_f64_e32 v[20:21], s[48:49], v[223:224]
	s_delay_alu instid0(VALU_DEP_3) | instskip(NEXT) | instid1(VALU_DEP_3)
	v_add_f64_e32 v[14:15], v[18:19], v[14:15]
	v_add_f64_e32 v[12:13], v[16:17], v[12:13]
	v_mul_f64_e32 v[16:17], s[44:45], v[223:224]
	v_mul_f64_e32 v[18:19], s[52:53], v[223:224]
	v_fma_f64 v[118:119], v[221:222], s[10:11], -v[20:21]
	v_fma_f64 v[20:21], v[221:222], s[10:11], v[20:21]
	v_add_f64_e32 v[10:11], v[14:15], v[10:11]
	v_add_f64_e32 v[8:9], v[12:13], v[8:9]
	v_mul_f64_e32 v[14:15], s[46:47], v[223:224]
	v_fma_f64 v[110:111], v[221:222], s[26:27], -v[16:17]
	v_fma_f64 v[16:17], v[221:222], s[26:27], v[16:17]
	v_fma_f64 v[116:117], v[221:222], s[20:21], -v[18:19]
	v_fma_f64 v[18:19], v[221:222], s[20:21], v[18:19]
	v_mul_f64_e32 v[12:13], s[40:41], v[223:224]
	v_add_f64_e32 v[6:7], v[10:11], v[6:7]
	v_add_f64_e32 v[4:5], v[8:9], v[4:5]
	v_fma_f64 v[108:109], v[221:222], s[34:35], v[14:15]
	v_mul_f64_e32 v[8:9], s[24:25], v[223:224]
	v_mul_f64_e32 v[10:11], s[36:37], v[223:224]
	v_fma_f64 v[14:15], v[221:222], s[34:35], -v[14:15]
	v_add_f64_e32 v[249:250], v[106:107], v[116:117]
	v_fma_f64 v[26:27], v[221:222], s[30:31], v[12:13]
	v_fma_f64 v[12:13], v[221:222], s[30:31], -v[12:13]
	v_add_f64_e32 v[116:117], v[106:107], v[118:119]
	v_add_f64_e32 v[118:119], v[104:105], v[146:147]
	v_add_f64_e32 v[146:147], v[104:105], v[126:127]
	v_add_f64_e32 v[2:3], v[6:7], v[2:3]
	v_add_f64_e32 v[0:1], v[4:5], v[0:1]
	v_mul_f64_e32 v[4:5], s[16:17], v[223:224]
	v_fma_f64 v[22:23], v[221:222], s[14:15], v[8:9]
	v_fma_f64 v[8:9], v[221:222], s[14:15], -v[8:9]
	v_mul_f64_e32 v[6:7], s[2:3], v[205:206]
	v_fma_f64 v[24:25], v[221:222], s[22:23], v[10:11]
	v_fma_f64 v[10:11], v[221:222], s[22:23], -v[10:11]
	v_add_f64_e32 v[223:224], v[106:107], v[14:15]
	v_add_f64_e32 v[14:15], v[106:107], v[110:111]
	v_mul_f64_e32 v[110:111], s[38:39], v[28:29]
	scratch_store_b128 off, v[0:3], off offset:80 ; 16-byte Folded Spill
	v_add_f64_e32 v[0:1], v[106:107], v[108:109]
	v_add_f64_e64 v[4:5], v[162:163], -v[4:5]
	v_add_f64_e32 v[205:206], v[106:107], v[8:9]
	v_mul_f64_e32 v[8:9], s[18:19], v[32:33]
	v_add_f64_e32 v[6:7], v[6:7], v[211:212]
	v_add_f64_e32 v[207:208], v[106:107], v[10:11]
	v_mul_f64_e32 v[10:11], s[10:11], v[148:149]
	v_add_f64_e32 v[22:23], v[106:107], v[22:23]
	v_add_f64_e32 v[24:25], v[106:107], v[24:25]
	;; [unrolled: 1-line block ×4, first 2 shown]
	v_mul_f64_e32 v[108:109], s[22:23], v[160:161]
	v_add_f64_e64 v[110:111], v[237:238], -v[110:111]
	v_mul_f64_e32 v[162:163], s[36:37], v[42:43]
	scratch_store_b64 off, v[0:1], off offset:184 ; 8-byte Folded Spill
	v_add_f64_e32 v[0:1], v[104:105], v[140:141]
	v_add_f64_e32 v[4:5], v[106:107], v[4:5]
	v_add_f64_e64 v[8:9], v[215:216], -v[8:9]
	v_add_f64_e32 v[6:7], v[104:105], v[6:7]
	v_mul_f64_e32 v[215:216], s[40:41], v[169:170]
	v_add_f64_e32 v[10:11], v[10:11], v[40:41]
	v_dual_mov_b32 v141, v37 :: v_dual_mov_b32 v140, v36
	v_mul_f64_e32 v[40:41], s[38:39], v[62:63]
	v_add_f64_e32 v[108:109], v[108:109], v[225:226]
	scratch_store_b64 off, v[0:1], off offset:176 ; 8-byte Folded Spill
	v_add_f64_e32 v[0:1], v[106:107], v[16:17]
	v_add_f64_e32 v[4:5], v[8:9], v[4:5]
	v_mul_f64_e32 v[16:17], s[36:37], v[197:198]
	v_mul_f64_e32 v[8:9], s[26:27], v[166:167]
	v_add_f64_e32 v[6:7], v[10:11], v[6:7]
	v_mul_f64_e32 v[10:11], s[40:41], v[38:39]
	scratch_store_b64 off, v[0:1], off offset:168 ; 8-byte Folded Spill
	v_add_f64_e32 v[0:1], v[104:105], v[128:129]
	v_add_f64_e64 v[16:17], v[233:234], -v[16:17]
	v_add_f64_e32 v[8:9], v[8:9], v[231:232]
	v_add_f64_e64 v[10:11], v[241:242], -v[10:11]
	scratch_store_b64 off, v[0:1], off offset:160 ; 8-byte Folded Spill
	v_add_f64_e32 v[0:1], v[106:107], v[18:19]
	v_mul_f64_e32 v[18:19], s[28:29], v[193:194]
	scratch_store_b64 off, v[0:1], off offset:152 ; 8-byte Folded Spill
	v_add_f64_e32 v[0:1], v[104:105], v[130:131]
	v_add_f64_e64 v[18:19], v[227:228], -v[18:19]
	scratch_store_b64 off, v[0:1], off offset:144 ; 8-byte Folded Spill
	v_add_f64_e32 v[0:1], v[106:107], v[20:21]
	v_mul_f64_e32 v[20:21], s[24:25], v[36:37]
	v_mul_f64_e32 v[106:107], s[20:21], v[156:157]
	scratch_store_b64 off, v[0:1], off offset:120 ; 8-byte Folded Spill
	v_add_f64_e32 v[0:1], v[104:105], v[132:133]
	v_add_f64_e64 v[20:21], v[217:218], -v[20:21]
	v_mul_f64_e32 v[104:105], s[14:15], v[152:153]
	v_add_f64_e32 v[106:107], v[106:107], v[219:220]
	v_mul_f64_e32 v[217:218], s[56:57], v[32:33]
	v_mul_f64_e32 v[219:220], s[56:57], v[203:204]
	scratch_store_b64 off, v[0:1], off offset:112 ; 8-byte Folded Spill
	v_add_f64_e32 v[4:5], v[20:21], v[4:5]
	v_add_f64_e32 v[104:105], v[104:105], v[213:214]
	v_mul_f64_e32 v[20:21], s[46:47], v[36:37]
	v_mul_f64_e32 v[213:214], s[40:41], v[42:43]
	s_delay_alu instid0(VALU_DEP_4) | instskip(NEXT) | instid1(VALU_DEP_4)
	v_add_f64_e32 v[4:5], v[18:19], v[4:5]
	v_add_f64_e32 v[6:7], v[104:105], v[6:7]
	v_mul_f64_e32 v[18:19], s[30:31], v[175:176]
	s_delay_alu instid0(VALU_DEP_3) | instskip(NEXT) | instid1(VALU_DEP_3)
	v_add_f64_e32 v[4:5], v[16:17], v[4:5]
	v_add_f64_e32 v[6:7], v[106:107], v[6:7]
	v_mul_f64_e32 v[16:17], s[42:43], v[42:43]
	s_delay_alu instid0(VALU_DEP_4) | instskip(NEXT) | instid1(VALU_DEP_4)
	v_add_f64_e32 v[18:19], v[18:19], v[235:236]
	v_add_f64_e32 v[4:5], v[110:111], v[4:5]
	s_delay_alu instid0(VALU_DEP_4) | instskip(NEXT) | instid1(VALU_DEP_4)
	v_add_f64_e32 v[6:7], v[108:109], v[6:7]
	v_add_f64_e64 v[16:17], v[243:244], -v[16:17]
	s_delay_alu instid0(VALU_DEP_3) | instskip(NEXT) | instid1(VALU_DEP_3)
	v_add_f64_e32 v[4:5], v[10:11], v[4:5]
	v_add_f64_e32 v[6:7], v[8:9], v[6:7]
	v_mul_f64_e32 v[8:9], s[34:35], v[179:180]
	s_delay_alu instid0(VALU_DEP_3) | instskip(NEXT) | instid1(VALU_DEP_3)
	v_add_f64_e32 v[2:3], v[16:17], v[4:5]
	v_add_f64_e32 v[10:11], v[18:19], v[6:7]
	s_delay_alu instid0(VALU_DEP_3) | instskip(SKIP_4) | instid1(VALU_DEP_2)
	v_add_f64_e32 v[8:9], v[8:9], v[239:240]
	v_mul_f64_e32 v[16:17], s[38:39], v[32:33]
	v_mul_f64_e32 v[18:19], s[38:39], v[203:204]
	v_dual_mov_b32 v4, v60 :: v_dual_mov_b32 v5, v61
	v_dual_mov_b32 v6, v28 :: v_dual_mov_b32 v7, v29
	v_mul_f64_e32 v[185:186], s[48:49], v[4:5]
	s_delay_alu instid0(VALU_DEP_2)
	v_mul_f64_e32 v[171:172], s[48:49], v[6:7]
	v_add_f64_e32 v[0:1], v[8:9], v[10:11]
	v_fma_f64 v[8:9], v[150:151], s[26:27], v[16:17]
	v_fma_f64 v[10:11], v[148:149], s[26:27], -v[18:19]
	v_fma_f64 v[16:17], v[150:151], s[26:27], -v[16:17]
	v_fma_f64 v[18:19], v[148:149], s[26:27], v[18:19]
	scratch_store_b128 off, v[0:3], off offset:96 ; 16-byte Folded Spill
	v_add_f64_e32 v[8:9], v[8:9], v[22:23]
	v_fma_f64 v[22:23], v[154:155], s[34:35], v[20:21]
	v_add_f64_e32 v[10:11], v[10:11], v[134:135]
	v_add_f64_e32 v[16:17], v[16:17], v[205:206]
	v_fma_f64 v[20:21], v[154:155], s[34:35], -v[20:21]
	v_add_f64_e32 v[18:19], v[18:19], v[120:121]
	v_mul_f64_e32 v[120:121], s[24:25], v[193:194]
	v_mul_f64_e32 v[205:206], s[16:17], v[62:63]
	v_add_f64_e32 v[8:9], v[22:23], v[8:9]
	v_mul_f64_e32 v[22:23], s[46:47], v[30:31]
	v_add_f64_e32 v[16:17], v[20:21], v[16:17]
	s_delay_alu instid0(VALU_DEP_2) | instskip(SKIP_2) | instid1(VALU_DEP_3)
	v_fma_f64 v[104:105], v[152:153], s[34:35], -v[22:23]
	v_fma_f64 v[20:21], v[152:153], s[34:35], v[22:23]
	v_fma_f64 v[22:23], v[179:180], s[30:31], v[215:216]
	v_add_f64_e32 v[10:11], v[104:105], v[10:11]
	v_mul_f64_e32 v[104:105], s[50:51], v[193:194]
	s_delay_alu instid0(VALU_DEP_4) | instskip(NEXT) | instid1(VALU_DEP_2)
	v_add_f64_e32 v[18:19], v[20:21], v[18:19]
	v_fma_f64 v[106:107], v[158:159], s[22:23], v[104:105]
	v_fma_f64 v[20:21], v[158:159], s[22:23], -v[104:105]
	v_mul_f64_e32 v[104:105], s[54:55], v[32:33]
	s_delay_alu instid0(VALU_DEP_3) | instskip(SKIP_1) | instid1(VALU_DEP_4)
	v_add_f64_e32 v[8:9], v[106:107], v[8:9]
	v_mul_f64_e32 v[106:107], s[50:51], v[34:35]
	v_add_f64_e32 v[16:17], v[20:21], v[16:17]
	s_delay_alu instid0(VALU_DEP_2) | instskip(SKIP_2) | instid1(VALU_DEP_3)
	v_fma_f64 v[108:109], v[156:157], s[22:23], -v[106:107]
	v_fma_f64 v[20:21], v[156:157], s[22:23], v[106:107]
	v_mul_f64_e32 v[106:107], s[54:55], v[203:204]
	v_add_f64_e32 v[10:11], v[108:109], v[10:11]
	v_mul_f64_e32 v[108:109], s[48:49], v[197:198]
	s_delay_alu instid0(VALU_DEP_4) | instskip(NEXT) | instid1(VALU_DEP_2)
	v_add_f64_e32 v[18:19], v[20:21], v[18:19]
	v_fma_f64 v[110:111], v[164:165], s[10:11], v[108:109]
	v_fma_f64 v[20:21], v[164:165], s[10:11], -v[108:109]
	v_mul_f64_e32 v[108:109], s[48:49], v[36:37]
	s_delay_alu instid0(VALU_DEP_3) | instskip(SKIP_1) | instid1(VALU_DEP_4)
	v_add_f64_e32 v[8:9], v[110:111], v[8:9]
	v_mul_f64_e32 v[110:111], s[48:49], v[201:202]
	v_add_f64_e32 v[16:17], v[20:21], v[16:17]
	s_delay_alu instid0(VALU_DEP_2) | instskip(SKIP_2) | instid1(VALU_DEP_3)
	v_fma_f64 v[126:127], v[160:161], s[10:11], -v[110:111]
	v_fma_f64 v[20:21], v[160:161], s[10:11], v[110:111]
	v_mul_f64_e32 v[110:111], s[48:49], v[30:31]
	;; [unrolled: 15-line block ×3, first 2 shown]
	v_add_f64_e32 v[10:11], v[130:131], v[10:11]
	v_mul_f64_e32 v[130:131], s[28:29], v[38:39]
	s_delay_alu instid0(VALU_DEP_4) | instskip(NEXT) | instid1(VALU_DEP_2)
	v_add_f64_e32 v[18:19], v[20:21], v[18:19]
	v_fma_f64 v[132:133], v[177:178], s[20:21], v[130:131]
	v_fma_f64 v[20:21], v[177:178], s[20:21], -v[130:131]
	v_mul_f64_e32 v[130:131], s[42:43], v[201:202]
	s_delay_alu instid0(VALU_DEP_3) | instskip(SKIP_1) | instid1(VALU_DEP_4)
	v_add_f64_e32 v[8:9], v[132:133], v[8:9]
	v_mul_f64_e32 v[132:133], s[28:29], v[62:63]
	v_add_f64_e32 v[16:17], v[20:21], v[16:17]
	s_delay_alu instid0(VALU_DEP_2) | instskip(SKIP_2) | instid1(VALU_DEP_3)
	v_fma_f64 v[20:21], v[175:176], s[20:21], v[132:133]
	v_fma_f64 v[134:135], v[175:176], s[20:21], -v[132:133]
	v_mul_f64_e32 v[132:133], s[52:53], v[28:29]
	v_add_f64_e32 v[20:21], v[20:21], v[18:19]
	v_fma_f64 v[18:19], v[181:182], s[30:31], -v[213:214]
	s_delay_alu instid0(VALU_DEP_4) | instskip(SKIP_2) | instid1(VALU_DEP_4)
	v_add_f64_e32 v[134:135], v[134:135], v[10:11]
	v_fma_f64 v[10:11], v[181:182], s[30:31], v[213:214]
	v_mul_f64_e32 v[213:214], s[38:39], v[42:43]
	v_add_f64_e32 v[18:19], v[18:19], v[16:17]
	v_add_f64_e32 v[16:17], v[22:23], v[20:21]
	v_fma_f64 v[20:21], v[150:151], s[30:31], v[104:105]
	v_fma_f64 v[22:23], v[148:149], s[30:31], -v[106:107]
	v_add_f64_e32 v[2:3], v[10:11], v[8:9]
	v_fma_f64 v[8:9], v[179:180], s[30:31], -v[215:216]
	v_mul_f64_e32 v[215:216], s[38:39], v[169:170]
	v_mul_f64_e32 v[10:11], s[54:55], v[60:61]
	v_add_f64_e32 v[20:21], v[20:21], v[24:25]
	v_fma_f64 v[24:25], v[154:155], s[10:11], v[108:109]
	v_add_f64_e32 v[22:23], v[22:23], v[136:137]
	v_add_f64_e32 v[0:1], v[8:9], v[134:135]
	v_mul_f64_e32 v[134:135], s[52:53], v[60:61]
	v_mul_f64_e32 v[136:137], s[16:17], v[38:39]
	;; [unrolled: 1-line block ×3, first 2 shown]
	v_add_f64_e32 v[20:21], v[24:25], v[20:21]
	v_fma_f64 v[24:25], v[152:153], s[10:11], -v[110:111]
	scratch_store_b128 off, v[0:3], off offset:128 ; 16-byte Folded Spill
	v_mul_f64_e32 v[0:1], s[46:47], v[38:39]
	v_add_f64_e32 v[22:23], v[24:25], v[22:23]
	v_fma_f64 v[24:25], v[158:159], s[14:15], v[120:121]
	s_delay_alu instid0(VALU_DEP_3) | instskip(SKIP_1) | instid1(VALU_DEP_3)
	v_fma_f64 v[2:3], v[177:178], s[34:35], -v[0:1]
	v_fma_f64 v[0:1], v[177:178], s[34:35], v[0:1]
	v_add_f64_e32 v[20:21], v[24:25], v[20:21]
	v_fma_f64 v[24:25], v[156:157], s[14:15], -v[126:127]
	s_delay_alu instid0(VALU_DEP_1) | instskip(SKIP_1) | instid1(VALU_DEP_1)
	v_add_f64_e32 v[22:23], v[24:25], v[22:23]
	v_fma_f64 v[24:25], v[164:165], s[34:35], v[128:129]
	v_add_f64_e32 v[20:21], v[24:25], v[20:21]
	v_fma_f64 v[24:25], v[160:161], s[34:35], -v[130:131]
	s_delay_alu instid0(VALU_DEP_1) | instskip(SKIP_1) | instid1(VALU_DEP_1)
	v_add_f64_e32 v[22:23], v[24:25], v[22:23]
	;; [unrolled: 5-line block ×5, first 2 shown]
	v_fma_f64 v[24:25], v[150:151], s[14:15], -v[217:218]
	v_add_f64_e32 v[24:25], v[24:25], v[26:27]
	v_fma_f64 v[26:27], v[148:149], s[14:15], v[219:220]
	s_delay_alu instid0(VALU_DEP_1) | instskip(SKIP_1) | instid1(VALU_DEP_1)
	v_add_f64_e32 v[26:27], v[26:27], v[124:125]
	v_mul_f64_e32 v[124:125], s[28:29], v[36:37]
	v_fma_f64 v[225:226], v[154:155], s[20:21], -v[124:125]
	s_delay_alu instid0(VALU_DEP_1) | instskip(SKIP_1) | instid1(VALU_DEP_1)
	v_add_f64_e32 v[24:25], v[225:226], v[24:25]
	v_mul_f64_e32 v[225:226], s[28:29], v[30:31]
	v_fma_f64 v[227:228], v[152:153], s[20:21], v[225:226]
	s_delay_alu instid0(VALU_DEP_1) | instskip(SKIP_1) | instid1(VALU_DEP_1)
	v_add_f64_e32 v[26:27], v[227:228], v[26:27]
	v_mul_f64_e32 v[227:228], s[44:45], v[193:194]
	v_fma_f64 v[231:232], v[158:159], s[26:27], -v[227:228]
	s_delay_alu instid0(VALU_DEP_1) | instskip(SKIP_1) | instid1(VALU_DEP_1)
	v_add_f64_e32 v[24:25], v[231:232], v[24:25]
	v_mul_f64_e32 v[231:232], s[44:45], v[34:35]
	;; [unrolled: 8-line block ×5, first 2 shown]
	v_fma_f64 v[12:13], v[175:176], s[10:11], v[243:244]
	s_delay_alu instid0(VALU_DEP_1) | instskip(SKIP_1) | instid1(VALU_DEP_1)
	v_add_f64_e32 v[12:13], v[12:13], v[26:27]
	v_fma_f64 v[26:27], v[181:182], s[22:23], -v[162:163]
	v_add_f64_e32 v[26:27], v[26:27], v[24:25]
	v_fma_f64 v[24:25], v[179:180], s[22:23], v[209:210]
	s_delay_alu instid0(VALU_DEP_1)
	v_add_f64_e32 v[24:25], v[24:25], v[12:13]
	v_fma_f64 v[12:13], v[150:151], s[30:31], -v[104:105]
	v_fma_f64 v[104:105], v[148:149], s[30:31], v[106:107]
	v_fma_f64 v[106:107], v[154:155], s[10:11], -v[108:109]
	v_fma_f64 v[108:109], v[179:180], s[26:27], v[215:216]
	v_mul_f64_e32 v[215:216], s[40:41], v[201:202]
	v_add_f64_e32 v[12:13], v[12:13], v[207:208]
	v_add_f64_e32 v[104:105], v[104:105], v[122:123]
	v_mul_f64_e32 v[207:208], s[44:45], v[30:31]
	s_delay_alu instid0(VALU_DEP_3) | instskip(SKIP_2) | instid1(VALU_DEP_2)
	v_add_f64_e32 v[12:13], v[106:107], v[12:13]
	v_fma_f64 v[106:107], v[152:153], s[10:11], v[110:111]
	v_fma_f64 v[110:111], v[154:155], s[20:21], v[124:125]
	v_add_f64_e32 v[104:105], v[106:107], v[104:105]
	v_fma_f64 v[106:107], v[158:159], s[14:15], -v[120:121]
	v_fma_f64 v[120:121], v[179:180], s[22:23], -v[209:210]
	v_mul_f64_e32 v[209:210], s[46:47], v[193:194]
	s_delay_alu instid0(VALU_DEP_3) | instskip(SKIP_1) | instid1(VALU_DEP_1)
	v_add_f64_e32 v[12:13], v[106:107], v[12:13]
	v_fma_f64 v[106:107], v[156:157], s[14:15], v[126:127]
	v_add_f64_e32 v[104:105], v[106:107], v[104:105]
	v_fma_f64 v[106:107], v[164:165], s[34:35], -v[128:129]
	s_delay_alu instid0(VALU_DEP_1) | instskip(SKIP_1) | instid1(VALU_DEP_1)
	v_add_f64_e32 v[12:13], v[106:107], v[12:13]
	v_fma_f64 v[106:107], v[160:161], s[34:35], v[130:131]
	v_add_f64_e32 v[104:105], v[106:107], v[104:105]
	v_fma_f64 v[106:107], v[173:174], s[20:21], -v[132:133]
	v_mul_f64_e32 v[132:133], s[16:17], v[32:33]
	s_delay_alu instid0(VALU_DEP_2) | instskip(SKIP_2) | instid1(VALU_DEP_2)
	v_add_f64_e32 v[12:13], v[106:107], v[12:13]
	v_fma_f64 v[106:107], v[166:167], s[20:21], v[134:135]
	v_mul_f64_e32 v[134:135], s[16:17], v[203:204]
	v_add_f64_e32 v[104:105], v[106:107], v[104:105]
	v_fma_f64 v[106:107], v[177:178], s[2:3], -v[136:137]
	v_mul_f64_e32 v[136:137], s[36:37], v[32:33]
	s_delay_alu instid0(VALU_DEP_4) | instskip(NEXT) | instid1(VALU_DEP_3)
	v_fma_f64 v[130:131], v[148:149], s[2:3], v[134:135]
	v_add_f64_e32 v[12:13], v[106:107], v[12:13]
	v_fma_f64 v[106:107], v[175:176], s[2:3], v[205:206]
	v_mul_f64_e32 v[205:206], s[44:45], v[36:37]
	s_delay_alu instid0(VALU_DEP_4) | instskip(SKIP_1) | instid1(VALU_DEP_4)
	v_add_f64_e32 v[130:131], v[130:131], v[146:147]
	v_mul_f64_e32 v[146:147], s[54:55], v[140:141]
	v_add_f64_e32 v[104:105], v[106:107], v[104:105]
	v_fma_f64 v[106:107], v[181:182], s[26:27], -v[213:214]
	v_mul_f64_e32 v[213:214], s[40:41], v[197:198]
	s_delay_alu instid0(VALU_DEP_3) | instskip(NEXT) | instid1(VALU_DEP_3)
	v_add_f64_e32 v[104:105], v[108:109], v[104:105]
	v_add_f64_e32 v[106:107], v[106:107], v[12:13]
	v_fma_f64 v[12:13], v[150:151], s[14:15], v[217:218]
	v_fma_f64 v[108:109], v[148:149], s[14:15], -v[219:220]
	v_mul_f64_e32 v[217:218], s[36:37], v[28:29]
	v_mul_f64_e32 v[219:220], s[36:37], v[60:61]
	;; [unrolled: 1-line block ×3, first 2 shown]
	v_dual_mov_b32 v28, v62 :: v_dual_mov_b32 v29, v63
	v_add_f64_e32 v[12:13], v[12:13], v[211:212]
	v_add_f64_e32 v[108:109], v[108:109], v[138:139]
	v_mul_f64_e32 v[211:212], s[46:47], v[34:35]
	v_mul_f64_e32 v[138:139], s[36:37], v[203:204]
	s_delay_alu instid0(VALU_DEP_4) | instskip(SKIP_2) | instid1(VALU_DEP_2)
	v_add_f64_e32 v[12:13], v[110:111], v[12:13]
	v_fma_f64 v[110:111], v[152:153], s[20:21], -v[225:226]
	v_mul_f64_e32 v[225:226], s[24:25], v[38:39]
	v_add_f64_e32 v[108:109], v[110:111], v[108:109]
	v_fma_f64 v[110:111], v[158:159], s[26:27], v[227:228]
	v_mul_f64_e32 v[227:228], s[24:25], v[62:63]
	v_fma_f64 v[62:63], v[164:165], s[20:21], -v[60:61]
	s_delay_alu instid0(VALU_DEP_3) | instskip(SKIP_2) | instid1(VALU_DEP_2)
	v_add_f64_e32 v[12:13], v[110:111], v[12:13]
	v_fma_f64 v[110:111], v[156:157], s[26:27], -v[231:232]
	v_mul_f64_e32 v[231:232], s[16:17], v[42:43]
	v_add_f64_e32 v[108:109], v[110:111], v[108:109]
	v_fma_f64 v[110:111], v[164:165], s[2:3], v[233:234]
	v_mul_f64_e32 v[233:234], s[16:17], v[169:170]
	s_delay_alu instid0(VALU_DEP_2) | instskip(SKIP_2) | instid1(VALU_DEP_2)
	v_add_f64_e32 v[12:13], v[110:111], v[12:13]
	v_fma_f64 v[110:111], v[160:161], s[2:3], -v[235:236]
	v_mul_f64_e32 v[235:236], s[46:47], v[32:33]
	v_add_f64_e32 v[108:109], v[110:111], v[108:109]
	v_fma_f64 v[110:111], v[173:174], s[34:35], v[237:238]
	v_mul_f64_e32 v[237:238], s[46:47], v[203:204]
	s_delay_alu instid0(VALU_DEP_2) | instskip(SKIP_1) | instid1(VALU_DEP_3)
	v_add_f64_e32 v[12:13], v[110:111], v[12:13]
	v_fma_f64 v[110:111], v[166:167], s[34:35], -v[239:240]
	v_fma_f64 v[122:123], v[148:149], s[34:35], v[237:238]
	v_mul_f64_e32 v[239:240], s[36:37], v[30:31]
	s_delay_alu instid0(VALU_DEP_3) | instskip(SKIP_1) | instid1(VALU_DEP_4)
	v_add_f64_e32 v[108:109], v[110:111], v[108:109]
	v_fma_f64 v[110:111], v[177:178], s[10:11], v[241:242]
	v_add_f64_e32 v[122:123], v[122:123], v[144:145]
	v_mul_f64_e32 v[144:145], s[36:37], v[36:37]
	v_mul_f64_e32 v[241:242], s[16:17], v[193:194]
	v_dual_mov_b32 v36, v245 :: v_dual_mov_b32 v245, v229
	v_mul_f64_e32 v[229:230], s[38:39], v[38:39]
	s_mov_b32 s37, 0x3fc7851a
	s_mov_b32 s36, s16
	s_wait_alu 0xfffe
	v_mul_f64_e32 v[191:192], s[36:37], v[30:31]
	v_add_f64_e32 v[12:13], v[110:111], v[12:13]
	v_fma_f64 v[110:111], v[175:176], s[10:11], -v[243:244]
	v_fma_f64 v[124:125], v[154:155], s[22:23], -v[144:145]
	v_mul_f64_e32 v[243:244], s[16:17], v[34:35]
	s_delay_alu instid0(VALU_DEP_3) | instskip(SKIP_2) | instid1(VALU_DEP_3)
	v_add_f64_e32 v[108:109], v[110:111], v[108:109]
	v_fma_f64 v[110:111], v[181:182], s[22:23], v[162:163]
	v_mul_f64_e32 v[162:163], s[52:53], v[203:204]
	v_add_f64_e32 v[108:109], v[120:121], v[108:109]
	s_delay_alu instid0(VALU_DEP_3) | instskip(SKIP_2) | instid1(VALU_DEP_2)
	v_add_f64_e32 v[110:111], v[110:111], v[12:13]
	v_mul_f64_e32 v[12:13], s[52:53], v[32:33]
	v_mul_f64_e32 v[32:33], s[28:29], v[169:170]
	v_fma_f64 v[120:121], v[150:151], s[20:21], -v[12:13]
	s_delay_alu instid0(VALU_DEP_1) | instskip(SKIP_1) | instid1(VALU_DEP_1)
	v_add_f64_e32 v[116:117], v[120:121], v[116:117]
	v_fma_f64 v[120:121], v[148:149], s[20:21], v[162:163]
	v_add_f64_e32 v[118:119], v[120:121], v[118:119]
	v_fma_f64 v[120:121], v[154:155], s[26:27], -v[205:206]
	s_delay_alu instid0(VALU_DEP_1) | instskip(SKIP_1) | instid1(VALU_DEP_1)
	v_add_f64_e32 v[116:117], v[120:121], v[116:117]
	v_fma_f64 v[120:121], v[152:153], s[26:27], v[207:208]
	v_add_f64_e32 v[118:119], v[120:121], v[118:119]
	;; [unrolled: 5-line block ×7, first 2 shown]
	v_fma_f64 v[120:121], v[150:151], s[34:35], -v[235:236]
	s_delay_alu instid0(VALU_DEP_1) | instskip(SKIP_1) | instid1(VALU_DEP_2)
	v_add_f64_e32 v[120:121], v[120:121], v[249:250]
	v_mul_f64_e32 v[249:250], s[56:57], v[197:198]
	v_add_f64_e32 v[120:121], v[124:125], v[120:121]
	v_fma_f64 v[124:125], v[152:153], s[22:23], v[239:240]
	s_delay_alu instid0(VALU_DEP_1) | instskip(SKIP_1) | instid1(VALU_DEP_1)
	v_add_f64_e32 v[122:123], v[124:125], v[122:123]
	v_fma_f64 v[124:125], v[158:159], s[2:3], -v[241:242]
	v_add_f64_e32 v[120:121], v[124:125], v[120:121]
	v_fma_f64 v[124:125], v[156:157], s[2:3], v[243:244]
	s_delay_alu instid0(VALU_DEP_1) | instskip(SKIP_1) | instid1(VALU_DEP_1)
	v_add_f64_e32 v[122:123], v[124:125], v[122:123]
	v_fma_f64 v[124:125], v[164:165], s[14:15], -v[249:250]
	;; [unrolled: 5-line block ×6, first 2 shown]
	v_add_f64_e32 v[14:15], v[124:125], v[14:15]
	v_fma_f64 v[124:125], v[148:149], s[22:23], v[138:139]
	s_delay_alu instid0(VALU_DEP_1) | instskip(SKIP_1) | instid1(VALU_DEP_1)
	v_add_f64_e32 v[124:125], v[124:125], v[142:143]
	v_mul_f64_e32 v[142:143], s[36:37], v[140:141]
	v_fma_f64 v[126:127], v[154:155], s[2:3], -v[142:143]
	s_delay_alu instid0(VALU_DEP_1) | instskip(SKIP_1) | instid1(VALU_DEP_1)
	v_add_f64_e32 v[14:15], v[126:127], v[14:15]
	v_fma_f64 v[126:127], v[152:153], s[2:3], v[191:192]
	v_add_f64_e32 v[124:125], v[126:127], v[124:125]
	v_fma_f64 v[126:127], v[158:159], s[30:31], -v[195:196]
	s_delay_alu instid0(VALU_DEP_1) | instskip(SKIP_1) | instid1(VALU_DEP_2)
	v_add_f64_e32 v[14:15], v[126:127], v[14:15]
	v_fma_f64 v[126:127], v[156:157], s[30:31], v[199:200]
	v_add_f64_e32 v[14:15], v[62:63], v[14:15]
	v_mul_f64_e32 v[62:63], s[28:29], v[201:202]
	s_delay_alu instid0(VALU_DEP_3) | instskip(NEXT) | instid1(VALU_DEP_2)
	v_add_f64_e32 v[124:125], v[126:127], v[124:125]
	v_fma_f64 v[126:127], v[160:161], s[20:21], v[62:63]
	s_delay_alu instid0(VALU_DEP_1) | instskip(SKIP_1) | instid1(VALU_DEP_1)
	v_add_f64_e32 v[124:125], v[126:127], v[124:125]
	v_fma_f64 v[126:127], v[173:174], s[10:11], -v[171:172]
	v_add_f64_e32 v[14:15], v[126:127], v[14:15]
	v_fma_f64 v[126:127], v[166:167], s[10:11], v[185:186]
	s_delay_alu instid0(VALU_DEP_2) | instskip(SKIP_1) | instid1(VALU_DEP_3)
	v_add_f64_e32 v[2:3], v[2:3], v[14:15]
	v_mul_f64_e32 v[14:15], s[46:47], v[28:29]
	v_add_f64_e32 v[124:125], v[126:127], v[124:125]
	v_mul_f64_e32 v[28:29], s[50:51], v[28:29]
	s_delay_alu instid0(VALU_DEP_3) | instskip(NEXT) | instid1(VALU_DEP_1)
	v_fma_f64 v[126:127], v[175:176], s[34:35], v[14:15]
	v_add_f64_e32 v[124:125], v[126:127], v[124:125]
	v_fma_f64 v[126:127], v[181:182], s[14:15], -v[189:190]
	s_delay_alu instid0(VALU_DEP_1) | instskip(SKIP_1) | instid1(VALU_DEP_1)
	v_add_f64_e32 v[126:127], v[126:127], v[2:3]
	v_mul_f64_e32 v[2:3], s[24:25], v[169:170]
	v_fma_f64 v[128:129], v[179:180], s[14:15], v[2:3]
	v_fma_f64 v[2:3], v[179:180], s[14:15], -v[2:3]
	s_delay_alu instid0(VALU_DEP_2) | instskip(SKIP_1) | instid1(VALU_DEP_1)
	v_add_f64_e32 v[124:125], v[128:129], v[124:125]
	v_fma_f64 v[128:129], v[150:151], s[2:3], -v[132:133]
	v_add_f64_e32 v[128:129], v[128:129], v[223:224]
	v_fma_f64 v[223:224], v[154:155], s[30:31], -v[146:147]
	s_delay_alu instid0(VALU_DEP_1) | instskip(SKIP_2) | instid1(VALU_DEP_2)
	v_add_f64_e32 v[128:129], v[223:224], v[128:129]
	v_mul_f64_e32 v[223:224], s[54:55], v[30:31]
	v_fma_f64 v[30:31], v[175:176], s[22:23], v[28:29]
	v_fma_f64 v[140:141], v[152:153], s[30:31], v[223:224]
	s_delay_alu instid0(VALU_DEP_1) | instskip(SKIP_1) | instid1(VALU_DEP_1)
	v_add_f64_e32 v[130:131], v[140:141], v[130:131]
	v_mul_f64_e32 v[140:141], s[18:19], v[193:194]
	v_fma_f64 v[221:222], v[158:159], s[10:11], -v[140:141]
	s_delay_alu instid0(VALU_DEP_1) | instskip(SKIP_1) | instid1(VALU_DEP_1)
	v_add_f64_e32 v[128:129], v[221:222], v[128:129]
	v_mul_f64_e32 v[221:222], s[18:19], v[34:35]
	v_fma_f64 v[193:194], v[156:157], s[10:11], v[221:222]
	s_delay_alu instid0(VALU_DEP_1) | instskip(SKIP_1) | instid1(VALU_DEP_1)
	v_add_f64_e32 v[130:131], v[193:194], v[130:131]
	v_mul_f64_e32 v[193:194], s[44:45], v[197:198]
	v_fma_f64 v[197:198], v[164:165], s[26:27], -v[193:194]
	s_delay_alu instid0(VALU_DEP_1) | instskip(SKIP_1) | instid1(VALU_DEP_1)
	v_add_f64_e32 v[128:129], v[197:198], v[128:129]
	v_mul_f64_e32 v[197:198], s[44:45], v[201:202]
	v_fma_f64 v[201:202], v[160:161], s[26:27], v[197:198]
	s_delay_alu instid0(VALU_DEP_1) | instskip(SKIP_4) | instid1(VALU_DEP_1)
	v_add_f64_e32 v[130:131], v[201:202], v[130:131]
	v_mul_f64_e32 v[201:202], s[24:25], v[6:7]
	v_mul_f64_e32 v[6:7], s[50:51], v[38:39]
	scratch_load_b64 v[37:38], off, off offset:176 th:TH_LOAD_LU ; 8-byte Folded Reload
	v_fma_f64 v[203:204], v[173:174], s[14:15], -v[201:202]
	v_add_f64_e32 v[128:129], v[203:204], v[128:129]
	v_mul_f64_e32 v[203:204], s[24:25], v[4:5]
	s_delay_alu instid0(VALU_DEP_1) | instskip(NEXT) | instid1(VALU_DEP_1)
	v_fma_f64 v[4:5], v[166:167], s[14:15], v[203:204]
	v_add_f64_e32 v[4:5], v[4:5], v[130:131]
	v_fma_f64 v[130:131], v[177:178], s[22:23], -v[6:7]
	v_fma_f64 v[6:7], v[177:178], s[22:23], v[6:7]
	s_delay_alu instid0(VALU_DEP_3) | instskip(SKIP_1) | instid1(VALU_DEP_4)
	v_add_f64_e32 v[4:5], v[30:31], v[4:5]
	v_mul_f64_e32 v[30:31], s[28:29], v[42:43]
	v_add_f64_e32 v[128:129], v[130:131], v[128:129]
	s_delay_alu instid0(VALU_DEP_2) | instskip(NEXT) | instid1(VALU_DEP_1)
	v_fma_f64 v[34:35], v[181:182], s[20:21], -v[30:31]
	v_add_f64_e32 v[130:131], v[34:35], v[128:129]
	v_fma_f64 v[34:35], v[179:180], s[20:21], v[32:33]
	s_delay_alu instid0(VALU_DEP_1) | instskip(SKIP_4) | instid1(VALU_DEP_2)
	v_add_f64_e32 v[128:129], v[34:35], v[4:5]
	scratch_load_b64 v[34:35], off, off offset:184 th:TH_LOAD_LU ; 8-byte Folded Reload
	v_fma_f64 v[4:5], v[150:151], s[2:3], v[132:133]
	v_fma_f64 v[132:133], v[154:155], s[30:31], v[146:147]
	s_wait_loadcnt 0x0
	v_add_f64_e32 v[4:5], v[4:5], v[34:35]
	v_fma_f64 v[34:35], v[148:149], s[2:3], -v[134:135]
	s_delay_alu instid0(VALU_DEP_2) | instskip(NEXT) | instid1(VALU_DEP_2)
	v_add_f64_e32 v[4:5], v[132:133], v[4:5]
	v_add_f64_e32 v[34:35], v[34:35], v[37:38]
	v_fma_f64 v[132:133], v[152:153], s[30:31], -v[223:224]
	s_delay_alu instid0(VALU_DEP_1) | instskip(SKIP_1) | instid1(VALU_DEP_1)
	v_add_f64_e32 v[34:35], v[132:133], v[34:35]
	v_fma_f64 v[132:133], v[158:159], s[10:11], v[140:141]
	v_add_f64_e32 v[4:5], v[132:133], v[4:5]
	v_fma_f64 v[132:133], v[156:157], s[10:11], -v[221:222]
	s_delay_alu instid0(VALU_DEP_1) | instskip(SKIP_1) | instid1(VALU_DEP_1)
	v_add_f64_e32 v[34:35], v[132:133], v[34:35]
	v_fma_f64 v[132:133], v[164:165], s[26:27], v[193:194]
	;; [unrolled: 5-line block ×3, first 2 shown]
	v_add_f64_e32 v[4:5], v[132:133], v[4:5]
	v_fma_f64 v[132:133], v[166:167], s[14:15], -v[203:204]
	s_delay_alu instid0(VALU_DEP_2) | instskip(NEXT) | instid1(VALU_DEP_2)
	v_add_f64_e32 v[4:5], v[6:7], v[4:5]
	v_add_f64_e32 v[34:35], v[132:133], v[34:35]
	v_fma_f64 v[6:7], v[175:176], s[22:23], -v[28:29]
	v_fma_f64 v[28:29], v[181:182], s[20:21], v[30:31]
	v_fma_f64 v[30:31], v[179:180], s[20:21], -v[32:33]
	s_delay_alu instid0(VALU_DEP_3) | instskip(NEXT) | instid1(VALU_DEP_3)
	v_add_f64_e32 v[6:7], v[6:7], v[34:35]
	v_add_f64_e32 v[134:135], v[28:29], v[4:5]
	scratch_load_b64 v[28:29], off, off offset:160 th:TH_LOAD_LU ; 8-byte Folded Reload
	v_fma_f64 v[4:5], v[150:151], s[22:23], v[136:137]
	v_add_f64_e32 v[132:133], v[30:31], v[6:7]
	scratch_load_b64 v[6:7], off, off offset:168 th:TH_LOAD_LU ; 8-byte Folded Reload
	s_wait_loadcnt 0x0
	v_add_f64_e32 v[4:5], v[4:5], v[6:7]
	v_fma_f64 v[6:7], v[148:149], s[22:23], -v[138:139]
	s_delay_alu instid0(VALU_DEP_1) | instskip(SKIP_1) | instid1(VALU_DEP_1)
	v_add_f64_e32 v[6:7], v[6:7], v[28:29]
	v_fma_f64 v[28:29], v[154:155], s[2:3], v[142:143]
	v_add_f64_e32 v[4:5], v[28:29], v[4:5]
	v_fma_f64 v[28:29], v[152:153], s[2:3], -v[191:192]
	s_delay_alu instid0(VALU_DEP_1) | instskip(SKIP_1) | instid1(VALU_DEP_1)
	v_add_f64_e32 v[6:7], v[28:29], v[6:7]
	v_fma_f64 v[28:29], v[158:159], s[30:31], v[195:196]
	;; [unrolled: 5-line block ×4, first 2 shown]
	v_add_f64_e32 v[4:5], v[28:29], v[4:5]
	v_fma_f64 v[28:29], v[166:167], s[10:11], -v[185:186]
	s_delay_alu instid0(VALU_DEP_2) | instskip(NEXT) | instid1(VALU_DEP_2)
	v_add_f64_e32 v[0:1], v[0:1], v[4:5]
	v_add_f64_e32 v[6:7], v[28:29], v[6:7]
	v_fma_f64 v[4:5], v[175:176], s[34:35], -v[14:15]
	s_delay_alu instid0(VALU_DEP_1) | instskip(SKIP_1) | instid1(VALU_DEP_2)
	v_add_f64_e32 v[4:5], v[4:5], v[6:7]
	v_fma_f64 v[6:7], v[181:182], s[14:15], v[189:190]
	v_add_f64_e32 v[136:137], v[2:3], v[4:5]
	s_clause 0x1
	scratch_load_b64 v[2:3], off, off offset:152 th:TH_LOAD_LU
	scratch_load_b64 v[4:5], off, off offset:144 th:TH_LOAD_LU
	v_add_f64_e32 v[138:139], v[6:7], v[0:1]
	v_fma_f64 v[0:1], v[150:151], s[34:35], v[235:236]
	v_fma_f64 v[6:7], v[179:180], s[10:11], -v[187:188]
	s_wait_loadcnt 0x1
	s_delay_alu instid0(VALU_DEP_2) | instskip(SKIP_2) | instid1(VALU_DEP_1)
	v_add_f64_e32 v[0:1], v[0:1], v[2:3]
	v_fma_f64 v[2:3], v[148:149], s[34:35], -v[237:238]
	s_wait_loadcnt 0x0
	v_add_f64_e32 v[2:3], v[2:3], v[4:5]
	v_fma_f64 v[4:5], v[154:155], s[22:23], v[144:145]
	s_delay_alu instid0(VALU_DEP_1) | instskip(SKIP_1) | instid1(VALU_DEP_1)
	v_add_f64_e32 v[0:1], v[4:5], v[0:1]
	v_fma_f64 v[4:5], v[152:153], s[22:23], -v[239:240]
	v_add_f64_e32 v[2:3], v[4:5], v[2:3]
	v_fma_f64 v[4:5], v[158:159], s[2:3], v[241:242]
	s_delay_alu instid0(VALU_DEP_1) | instskip(SKIP_1) | instid1(VALU_DEP_1)
	v_add_f64_e32 v[0:1], v[4:5], v[0:1]
	v_fma_f64 v[4:5], v[156:157], s[2:3], -v[243:244]
	;; [unrolled: 5-line block ×3, first 2 shown]
	v_add_f64_e32 v[2:3], v[4:5], v[2:3]
	v_fma_f64 v[4:5], v[173:174], s[30:31], v[8:9]
	scratch_load_b64 v[8:9], off, off offset:112 th:TH_LOAD_LU ; 8-byte Folded Reload
	v_add_f64_e32 v[0:1], v[4:5], v[0:1]
	v_fma_f64 v[4:5], v[166:167], s[30:31], -v[10:11]
	s_delay_alu instid0(VALU_DEP_1) | instskip(SKIP_1) | instid1(VALU_DEP_1)
	v_add_f64_e32 v[2:3], v[4:5], v[2:3]
	v_fma_f64 v[4:5], v[177:178], s[26:27], v[229:230]
	v_add_f64_e32 v[0:1], v[4:5], v[0:1]
	v_fma_f64 v[4:5], v[175:176], s[26:27], -v[40:41]
	s_delay_alu instid0(VALU_DEP_1) | instskip(SKIP_1) | instid1(VALU_DEP_2)
	v_add_f64_e32 v[2:3], v[4:5], v[2:3]
	v_fma_f64 v[4:5], v[181:182], s[10:11], v[183:184]
	v_add_f64_e32 v[140:141], v[6:7], v[2:3]
	scratch_load_b64 v[6:7], off, off offset:120 th:TH_LOAD_LU ; 8-byte Folded Reload
	v_add_f64_e32 v[142:143], v[4:5], v[0:1]
	v_fma_f64 v[0:1], v[150:151], s[20:21], v[12:13]
	v_fma_f64 v[2:3], v[148:149], s[20:21], -v[162:163]
	v_fma_f64 v[4:5], v[154:155], s[26:27], v[205:206]
	v_fma_f64 v[12:13], v[158:159], s[34:35], v[209:210]
	s_wait_loadcnt 0x1
	s_delay_alu instid0(VALU_DEP_3) | instskip(SKIP_3) | instid1(VALU_DEP_2)
	v_add_f64_e32 v[2:3], v[2:3], v[8:9]
	s_wait_loadcnt 0x0
	v_add_f64_e32 v[0:1], v[0:1], v[6:7]
	v_fma_f64 v[6:7], v[152:153], s[26:27], -v[207:208]
	v_add_f64_e32 v[0:1], v[4:5], v[0:1]
	v_fma_f64 v[4:5], v[156:157], s[34:35], -v[211:212]
	s_delay_alu instid0(VALU_DEP_3) | instskip(SKIP_1) | instid1(VALU_DEP_4)
	v_add_f64_e32 v[2:3], v[6:7], v[2:3]
	v_fma_f64 v[6:7], v[164:165], s[30:31], v[213:214]
	v_add_f64_e32 v[0:1], v[12:13], v[0:1]
	v_fma_f64 v[12:13], v[160:161], s[30:31], -v[215:216]
	s_delay_alu instid0(VALU_DEP_4) | instskip(SKIP_1) | instid1(VALU_DEP_4)
	v_add_f64_e32 v[2:3], v[4:5], v[2:3]
	v_fma_f64 v[4:5], v[173:174], s[22:23], v[217:218]
	v_add_f64_e32 v[0:1], v[6:7], v[0:1]
	v_fma_f64 v[6:7], v[166:167], s[22:23], -v[219:220]
	s_delay_alu instid0(VALU_DEP_4) | instskip(SKIP_1) | instid1(VALU_DEP_4)
	;; [unrolled: 5-line block ×3, first 2 shown]
	v_add_f64_e32 v[2:3], v[6:7], v[2:3]
	v_fma_f64 v[6:7], v[181:182], s[2:3], v[231:232]
	v_add_f64_e32 v[0:1], v[12:13], v[0:1]
	v_fma_f64 v[12:13], v[179:180], s[2:3], -v[233:234]
	s_delay_alu instid0(VALU_DEP_4) | instskip(NEXT) | instid1(VALU_DEP_3)
	v_add_f64_e32 v[2:3], v[4:5], v[2:3]
	v_add_f64_e32 v[14:15], v[6:7], v[0:1]
	scratch_load_b32 v0, off, off offset:60 th:TH_LOAD_LU ; 4-byte Folded Reload
	v_add_f64_e32 v[12:13], v[12:13], v[2:3]
	scratch_load_b128 v[1:4], off, off offset:80 th:TH_LOAD_LU ; 16-byte Folded Reload
	s_wait_loadcnt 0x1
	v_dual_mov_b32 v229, v245 :: v_dual_and_b32 v0, 0xffff, v0
	s_delay_alu instid0(VALU_DEP_1)
	v_dual_mov_b32 v245, v36 :: v_dual_lshlrev_b32 v0, 4, v0
	s_wait_loadcnt 0x0
	ds_store_b128 v0, v[1:4]
	ds_store_b128 v0, v[116:119] offset:16
	ds_store_b128 v0, v[120:123] offset:32
	;; [unrolled: 1-line block ×7, first 2 shown]
	scratch_load_b128 v[1:4], off, off offset:96 th:TH_LOAD_LU ; 16-byte Folded Reload
	s_wait_loadcnt 0x0
	ds_store_b128 v0, v[1:4] offset:128
	ds_store_b128 v0, v[112:115] offset:144
	scratch_load_b128 v[1:4], off, off offset:128 th:TH_LOAD_LU ; 16-byte Folded Reload
	s_wait_loadcnt 0x0
	ds_store_b128 v0, v[1:4] offset:160
	ds_store_b128 v0, v[20:23] offset:176
	ds_store_b128 v0, v[108:111] offset:192
	ds_store_b128 v0, v[132:135] offset:208
	ds_store_b128 v0, v[136:139] offset:224
	ds_store_b128 v0, v[140:143] offset:240
	ds_store_b128 v0, v[12:15] offset:256
.LBB0_17:
	s_wait_alu 0xfffe
	s_or_b32 exec_lo, exec_lo, s1
	global_wb scope:SCOPE_SE
	s_wait_storecnt_dscnt 0x0
	s_barrier_signal -1
	s_barrier_wait -1
	global_inv scope:SCOPE_SE
	ds_load_b128 v[0:3], v168 offset:1632
	ds_load_b128 v[4:7], v168 offset:13056
	;; [unrolled: 1-line block ×7, first 2 shown]
	s_clause 0x1
	scratch_load_b128 v[36:39], off, off offset:28 th:TH_LOAD_LU
	scratch_load_b128 v[40:43], off, off offset:44 th:TH_LOAD_LU
	s_mov_b32 s2, 0x8c811c17
	s_mov_b32 s14, 0xa2cf5039
	;; [unrolled: 1-line block ×8, first 2 shown]
	s_wait_dscnt 0x5
	v_mul_f64_e32 v[32:33], v[50:51], v[6:7]
	v_mul_f64_e32 v[34:35], v[50:51], v[4:5]
	s_wait_dscnt 0x2
	v_mul_f64_e32 v[60:61], v[58:59], v[18:19]
	v_mul_f64_e32 v[58:59], v[58:59], v[16:17]
	;; [unrolled: 3-line block ×3, first 2 shown]
	v_fma_f64 v[4:5], v[48:49], v[4:5], v[32:33]
	v_fma_f64 v[6:7], v[48:49], v[6:7], -v[34:35]
	v_fma_f64 v[16:17], v[56:57], v[16:17], v[60:61]
	v_fma_f64 v[18:19], v[56:57], v[18:19], -v[58:59]
	scratch_load_b128 v[56:59], off, off offset:12 th:TH_LOAD_LU ; 16-byte Folded Reload
	v_fma_f64 v[20:21], v[52:53], v[20:21], v[62:63]
	v_fma_f64 v[22:23], v[52:53], v[22:23], -v[54:55]
	s_wait_loadcnt 0x2
	v_mul_f64_e32 v[28:29], v[38:39], v[2:3]
	v_mul_f64_e32 v[30:31], v[38:39], v[0:1]
	;; [unrolled: 1-line block ×4, first 2 shown]
	s_wait_loadcnt 0x1
	v_mul_f64_e32 v[50:51], v[42:43], v[14:15]
	v_mul_f64_e32 v[42:43], v[42:43], v[12:13]
	v_fma_f64 v[28:29], v[36:37], v[0:1], v[28:29]
	v_fma_f64 v[30:31], v[36:37], v[2:3], -v[30:31]
	v_fma_f64 v[8:9], v[44:45], v[8:9], v[38:39]
	v_fma_f64 v[10:11], v[44:45], v[10:11], -v[46:47]
	;; [unrolled: 2-line block ×3, first 2 shown]
	ds_load_b128 v[0:3], v168 offset:9792
	s_wait_loadcnt_dscnt 0x1
	v_mul_f64_e32 v[32:33], v[58:59], v[26:27]
	v_mul_f64_e32 v[34:35], v[58:59], v[24:25]
	v_add_f64_e64 v[40:41], v[28:29], -v[4:5]
	v_add_f64_e64 v[42:43], v[30:31], -v[6:7]
	v_add_f64_e32 v[28:29], v[28:29], v[4:5]
	v_add_f64_e32 v[30:31], v[30:31], v[6:7]
	ds_load_b128 v[4:7], v168
	s_wait_dscnt 0x1
	v_mul_f64_e32 v[36:37], v[253:254], v[2:3]
	v_mul_f64_e32 v[38:39], v[253:254], v[0:1]
	v_add_f64_e32 v[44:45], v[12:13], v[16:17]
	v_add_f64_e64 v[46:47], v[12:13], -v[16:17]
	v_add_f64_e64 v[48:49], v[14:15], -v[18:19]
	v_add_f64_e32 v[50:51], v[8:9], v[20:21]
	v_add_f64_e32 v[52:53], v[10:11], v[22:23]
	;; [unrolled: 1-line block ×3, first 2 shown]
	v_add_f64_e64 v[8:9], v[8:9], -v[20:21]
	v_add_f64_e64 v[10:11], v[10:11], -v[22:23]
	global_wb scope:SCOPE_SE
	s_wait_dscnt 0x0
	s_barrier_signal -1
	s_barrier_wait -1
	global_inv scope:SCOPE_SE
	v_fma_f64 v[24:25], v[56:57], v[24:25], v[32:33]
	v_fma_f64 v[26:27], v[56:57], v[26:27], -v[34:35]
	s_wait_alu 0xfffe
	v_mul_f64_e32 v[20:21], s[10:11], v[40:41]
	v_mul_f64_e32 v[22:23], s[10:11], v[42:43]
	v_fma_f64 v[32:33], v[28:29], s[14:15], v[4:5]
	v_fma_f64 v[34:35], v[30:31], s[14:15], v[6:7]
	s_mov_b32 s11, 0xbfe491b7
	v_fma_f64 v[0:1], v[251:252], v[0:1], v[36:37]
	v_fma_f64 v[2:3], v[251:252], v[2:3], -v[38:39]
	v_fma_f64 v[36:37], v[44:45], s[14:15], v[4:5]
	v_mul_f64_e32 v[38:39], s[2:3], v[46:47]
	v_mul_f64_e32 v[56:57], s[2:3], v[48:49]
	v_fma_f64 v[58:59], v[50:51], s[14:15], v[4:5]
	v_fma_f64 v[60:61], v[52:53], s[14:15], v[6:7]
	v_fma_f64 v[62:63], v[54:55], s[14:15], v[6:7]
	s_wait_alu 0xfffe
	v_mul_f64_e32 v[104:105], s[10:11], v[48:49]
	v_mul_f64_e32 v[106:107], s[10:11], v[46:47]
	v_add_f64_e32 v[116:117], v[50:51], v[28:29]
	v_add_f64_e32 v[118:119], v[52:53], v[30:31]
	s_mov_b32 s14, 0x7e0b738b
	s_mov_b32 s15, 0x3fc63a1a
	v_fma_f64 v[20:21], v[8:9], s[2:3], v[20:21]
	v_fma_f64 v[22:23], v[10:11], s[2:3], v[22:23]
	v_add_f64_e32 v[108:109], v[24:25], v[0:1]
	v_add_f64_e32 v[110:111], v[26:27], v[2:3]
	v_add_f64_e64 v[0:1], v[24:25], -v[0:1]
	v_add_f64_e64 v[2:3], v[26:27], -v[2:3]
	s_wait_alu 0xfffe
	v_fma_f64 v[24:25], v[50:51], s[14:15], v[32:33]
	v_fma_f64 v[26:27], v[52:53], s[14:15], v[34:35]
	;; [unrolled: 1-line block ×3, first 2 shown]
	v_fma_f64 v[34:35], v[8:9], s[10:11], -v[38:39]
	v_fma_f64 v[36:37], v[10:11], s[10:11], -v[56:57]
	v_fma_f64 v[38:39], v[44:45], s[14:15], v[58:59]
	v_fma_f64 v[56:57], v[54:55], s[14:15], v[60:61]
	;; [unrolled: 1-line block ×5, first 2 shown]
	v_add_f64_e32 v[124:125], v[44:45], v[116:117]
	v_add_f64_e32 v[126:127], v[54:55], v[118:119]
	s_mov_b32 s2, 0xe8584cab
	s_mov_b32 s3, 0x3febb67a
	s_mov_b32 s11, 0xbfebb67a
	s_wait_alu 0xfffe
	s_mov_b32 s10, s2
	v_add_f64_e32 v[104:105], v[46:47], v[40:41]
	v_add_f64_e32 v[106:107], v[48:49], v[42:43]
	s_mov_b32 s14, 0x748a0bf8
	s_mov_b32 s15, 0x3fd5e3a8
	v_add_f64_e32 v[116:117], v[108:109], v[116:117]
	v_add_f64_e32 v[118:119], v[110:111], v[118:119]
	v_fma_f64 v[20:21], v[0:1], s[2:3], v[20:21]
	v_fma_f64 v[22:23], v[2:3], s[2:3], v[22:23]
	v_fma_f64 v[24:25], v[108:109], -0.5, v[24:25]
	v_fma_f64 v[26:27], v[110:111], -0.5, v[26:27]
	;; [unrolled: 1-line block ×3, first 2 shown]
	v_fma_f64 v[34:35], v[0:1], s[2:3], v[34:35]
	v_fma_f64 v[36:37], v[2:3], s[2:3], v[36:37]
	v_fma_f64 v[38:39], v[108:109], -0.5, v[38:39]
	v_fma_f64 v[56:57], v[110:111], -0.5, v[56:57]
	v_add_f64_e32 v[120:121], v[4:5], v[108:109]
	v_add_f64_e32 v[122:123], v[6:7], v[110:111]
	v_fma_f64 v[58:59], v[110:111], -0.5, v[58:59]
	s_wait_alu 0xfffe
	v_fma_f64 v[2:3], v[2:3], s[10:11], v[60:61]
	v_fma_f64 v[0:1], v[0:1], s[10:11], v[62:63]
	v_add_f64_e64 v[60:61], v[104:105], -v[8:9]
	v_add_f64_e64 v[62:63], v[106:107], -v[10:11]
	v_add_f64_e32 v[12:13], v[12:13], v[116:117]
	v_add_f64_e32 v[14:15], v[14:15], v[118:119]
	v_fma_f64 v[46:47], v[46:47], s[14:15], v[20:21]
	v_fma_f64 v[48:49], v[48:49], s[14:15], v[22:23]
	;; [unrolled: 1-line block ×9, first 2 shown]
	v_fma_f64 v[104:105], v[124:125], -0.5, v[120:121]
	v_fma_f64 v[106:107], v[126:127], -0.5, v[122:123]
	v_fma_f64 v[30:31], v[52:53], s[16:17], v[58:59]
	v_fma_f64 v[36:37], v[10:11], s[14:15], v[2:3]
	;; [unrolled: 1-line block ×3, first 2 shown]
	v_mul_f64_e32 v[0:1], s[2:3], v[60:61]
	v_mul_f64_e32 v[2:3], s[2:3], v[62:63]
	v_add_f64_e32 v[40:41], v[16:17], v[12:13]
	v_add_f64_e32 v[42:43], v[18:19], v[14:15]
	v_add_f64_e64 v[12:13], v[20:21], -v[48:49]
	v_add_f64_e32 v[14:15], v[46:47], v[22:23]
	v_add_f64_e64 v[16:17], v[26:27], -v[34:35]
	v_add_f64_e32 v[18:19], v[32:33], v[28:29]
	v_fma_f64 v[8:9], v[62:63], s[10:11], v[104:105]
	v_fma_f64 v[10:11], v[60:61], s[2:3], v[106:107]
	v_add_f64_e64 v[20:21], v[24:25], -v[36:37]
	v_add_f64_e32 v[22:23], v[38:39], v[30:31]
	v_add_f64_e32 v[4:5], v[4:5], v[40:41]
	;; [unrolled: 1-line block ×3, first 2 shown]
	v_fma_f64 v[28:29], v[34:35], 2.0, v[16:17]
	v_fma_f64 v[30:31], v[32:33], -2.0, v[18:19]
	v_fma_f64 v[24:25], v[2:3], 2.0, v[8:9]
	v_fma_f64 v[26:27], v[0:1], -2.0, v[10:11]
	;; [unrolled: 2-line block ×4, first 2 shown]
	ds_store_b128 v246, v[4:7]
	ds_store_b128 v246, v[12:15] offset:272
	ds_store_b128 v246, v[20:23] offset:544
	;; [unrolled: 1-line block ×8, first 2 shown]
	global_wb scope:SCOPE_SE
	s_wait_dscnt 0x0
	s_barrier_signal -1
	s_barrier_wait -1
	global_inv scope:SCOPE_SE
	ds_load_b128 v[8:11], v168
	ds_load_b128 v[12:15], v168 offset:1632
	ds_load_b128 v[24:27], v168 offset:7344
	;; [unrolled: 1-line block ×7, first 2 shown]
	s_mov_b32 s1, exec_lo
	scratch_load_b32 v104, off, off offset:8 ; 4-byte Folded Reload
	s_wait_alu 0xfffe
	s_and_b32 s2, s1, s0
	s_wait_alu 0xfffe
	s_mov_b32 exec_lo, s2
	s_cbranch_execz .LBB0_19
; %bb.18:
	ds_load_b128 v[0:3], v168 offset:6528
	ds_load_b128 v[112:115], v168 offset:13872
.LBB0_19:
	s_or_b32 exec_lo, exec_lo, s1
	s_wait_dscnt 0x5
	v_mul_f64_e32 v[36:37], v[74:75], v[26:27]
	v_mul_f64_e32 v[38:39], v[74:75], v[24:25]
	s_wait_dscnt 0x4
	v_mul_f64_e32 v[40:41], v[78:79], v[22:23]
	v_mul_f64_e32 v[42:43], v[78:79], v[20:21]
	;; [unrolled: 3-line block ×4, first 2 shown]
	global_wb scope:SCOPE_SE
	s_wait_loadcnt 0x0
	s_barrier_signal -1
	s_barrier_wait -1
	global_inv scope:SCOPE_SE
	v_fma_f64 v[24:25], v[72:73], v[24:25], v[36:37]
	v_fma_f64 v[26:27], v[72:73], v[26:27], -v[38:39]
	v_fma_f64 v[36:37], v[76:77], v[20:21], v[40:41]
	v_fma_f64 v[38:39], v[76:77], v[22:23], -v[42:43]
	;; [unrolled: 2-line block ×4, first 2 shown]
	v_add_f64_e64 v[20:21], v[8:9], -v[24:25]
	v_add_f64_e64 v[22:23], v[10:11], -v[26:27]
	;; [unrolled: 1-line block ×8, first 2 shown]
	v_fma_f64 v[8:9], v[8:9], 2.0, -v[20:21]
	v_fma_f64 v[10:11], v[10:11], 2.0, -v[22:23]
	;; [unrolled: 1-line block ×8, first 2 shown]
	ds_store_b128 v168, v[8:11]
	ds_store_b128 v168, v[20:23] offset:2448
	ds_store_b128 v255, v[12:15]
	ds_store_b128 v255, v[24:27] offset:2448
	ds_store_b128 v168, v[16:19] offset:5712
	;; [unrolled: 1-line block ×5, first 2 shown]
	s_and_saveexec_b32 s1, s0
	s_cbranch_execz .LBB0_21
; %bb.20:
	scratch_load_b128 v[8:11], off, off offset:64 th:TH_LOAD_LU ; 16-byte Folded Reload
	s_wait_loadcnt 0x0
	v_mul_f64_e32 v[4:5], v[10:11], v[112:113]
	v_mul_f64_e32 v[6:7], v[10:11], v[114:115]
	s_delay_alu instid0(VALU_DEP_2) | instskip(NEXT) | instid1(VALU_DEP_2)
	v_fma_f64 v[4:5], v[8:9], v[114:115], -v[4:5]
	v_fma_f64 v[8:9], v[8:9], v[112:113], v[6:7]
	s_delay_alu instid0(VALU_DEP_2) | instskip(NEXT) | instid1(VALU_DEP_2)
	v_add_f64_e64 v[6:7], v[2:3], -v[4:5]
	v_add_f64_e64 v[4:5], v[0:1], -v[8:9]
	s_delay_alu instid0(VALU_DEP_2) | instskip(NEXT) | instid1(VALU_DEP_2)
	v_fma_f64 v[2:3], v[2:3], 2.0, -v[6:7]
	v_fma_f64 v[0:1], v[0:1], 2.0, -v[4:5]
	ds_store_b128 v229, v[0:3] offset:9792
	ds_store_b128 v229, v[4:7] offset:12240
.LBB0_21:
	s_wait_alu 0xfffe
	s_or_b32 exec_lo, exec_lo, s1
	global_wb scope:SCOPE_SE
	s_wait_dscnt 0x0
	s_barrier_signal -1
	s_barrier_wait -1
	global_inv scope:SCOPE_SE
	ds_load_b128 v[0:3], v168 offset:4896
	ds_load_b128 v[4:7], v168 offset:9792
	;; [unrolled: 1-line block ×7, first 2 shown]
	s_mov_b32 s0, 0xe8584caa
	s_mov_b32 s1, 0xbfebb67a
	;; [unrolled: 1-line block ×3, first 2 shown]
	s_wait_alu 0xfffe
	s_mov_b32 s2, s0
	s_wait_dscnt 0x6
	v_mul_f64_e32 v[28:29], v[86:87], v[2:3]
	s_wait_dscnt 0x5
	v_mul_f64_e32 v[30:31], v[82:83], v[6:7]
	v_mul_f64_e32 v[32:33], v[86:87], v[0:1]
	v_mul_f64_e32 v[34:35], v[82:83], v[4:5]
	s_wait_dscnt 0x4
	v_mul_f64_e32 v[36:37], v[94:95], v[10:11]
	s_wait_dscnt 0x3
	v_mul_f64_e32 v[38:39], v[90:91], v[14:15]
	v_mul_f64_e32 v[40:41], v[94:95], v[8:9]
	v_mul_f64_e32 v[42:43], v[90:91], v[12:13]
	;; [unrolled: 6-line block ×3, first 2 shown]
	v_fma_f64 v[28:29], v[84:85], v[0:1], v[28:29]
	v_fma_f64 v[30:31], v[80:81], v[4:5], v[30:31]
	v_fma_f64 v[32:33], v[84:85], v[2:3], -v[32:33]
	v_fma_f64 v[34:35], v[80:81], v[6:7], -v[34:35]
	v_fma_f64 v[8:9], v[92:93], v[8:9], v[36:37]
	v_fma_f64 v[12:13], v[88:89], v[12:13], v[38:39]
	v_fma_f64 v[10:11], v[92:93], v[10:11], -v[40:41]
	v_fma_f64 v[14:15], v[88:89], v[14:15], -v[42:43]
	v_fma_f64 v[16:17], v[100:101], v[16:17], v[44:45]
	v_fma_f64 v[20:21], v[96:97], v[20:21], v[46:47]
	v_fma_f64 v[18:19], v[100:101], v[18:19], -v[48:49]
	v_fma_f64 v[22:23], v[96:97], v[22:23], -v[50:51]
	ds_load_b128 v[0:3], v168
	ds_load_b128 v[4:7], v168 offset:1632
	s_wait_dscnt 0x1
	v_add_f64_e32 v[48:49], v[0:1], v[28:29]
	v_add_f64_e32 v[36:37], v[28:29], v[30:31]
	v_add_f64_e64 v[28:29], v[28:29], -v[30:31]
	v_add_f64_e32 v[38:39], v[32:33], v[34:35]
	v_add_f64_e64 v[50:51], v[32:33], -v[34:35]
	v_add_f64_e32 v[40:41], v[8:9], v[12:13]
	v_add_f64_e32 v[32:33], v[2:3], v[32:33]
	;; [unrolled: 1-line block ×3, first 2 shown]
	s_wait_dscnt 0x0
	v_add_f64_e32 v[52:53], v[4:5], v[8:9]
	v_add_f64_e32 v[44:45], v[16:17], v[20:21]
	;; [unrolled: 1-line block ×4, first 2 shown]
	v_add_f64_e64 v[60:61], v[10:11], -v[14:15]
	v_add_f64_e64 v[62:63], v[8:9], -v[12:13]
	v_add_f64_e32 v[56:57], v[24:25], v[16:17]
	v_add_f64_e32 v[58:59], v[26:27], v[18:19]
	v_add_f64_e64 v[64:65], v[18:19], -v[22:23]
	v_add_f64_e64 v[66:67], v[16:17], -v[20:21]
	v_fma_f64 v[36:37], v[36:37], -0.5, v[0:1]
	v_add_f64_e32 v[0:1], v[48:49], v[30:31]
	v_fma_f64 v[38:39], v[38:39], -0.5, v[2:3]
	v_fma_f64 v[40:41], v[40:41], -0.5, v[4:5]
	v_add_f64_e32 v[2:3], v[32:33], v[34:35]
	v_fma_f64 v[42:43], v[42:43], -0.5, v[6:7]
	v_add_f64_e32 v[4:5], v[52:53], v[12:13]
	;; [unrolled: 2-line block ×4, first 2 shown]
	v_add_f64_e32 v[10:11], v[58:59], v[22:23]
	s_wait_alu 0xfffe
	v_fma_f64 v[16:17], v[50:51], s[2:3], v[36:37]
	v_fma_f64 v[12:13], v[50:51], s[0:1], v[36:37]
	v_fma_f64 v[18:19], v[28:29], s[0:1], v[38:39]
	v_fma_f64 v[14:15], v[28:29], s[2:3], v[38:39]
	v_fma_f64 v[24:25], v[60:61], s[2:3], v[40:41]
	v_fma_f64 v[20:21], v[60:61], s[0:1], v[40:41]
	v_fma_f64 v[26:27], v[62:63], s[0:1], v[42:43]
	v_fma_f64 v[22:23], v[62:63], s[2:3], v[42:43]
	v_fma_f64 v[28:29], v[64:65], s[0:1], v[44:45]
	v_fma_f64 v[32:33], v[64:65], s[2:3], v[44:45]
	v_fma_f64 v[30:31], v[66:67], s[2:3], v[46:47]
	v_fma_f64 v[34:35], v[66:67], s[0:1], v[46:47]
	ds_store_b128 v168, v[0:3]
	ds_store_b128 v168, v[4:7] offset:1632
	ds_store_b128 v168, v[16:19] offset:9792
	;; [unrolled: 1-line block ×8, first 2 shown]
	global_wb scope:SCOPE_SE
	s_wait_dscnt 0x0
	s_barrier_signal -1
	s_barrier_wait -1
	global_inv scope:SCOPE_SE
	s_and_b32 exec_lo, exec_lo, vcc_lo
	s_cbranch_execz .LBB0_23
; %bb.22:
	global_load_b128 v[0:3], v168, s[8:9]
	ds_load_b128 v[4:7], v168
	ds_load_b128 v[8:11], v168 offset:864
	ds_load_b128 v[12:15], v168 offset:13824
	s_mov_b32 s0, 0x672e4abd
	s_mov_b32 s1, 0x3f51d8f5
	s_mul_u64 s[2:3], s[4:5], 0x360
	s_wait_loadcnt_dscnt 0x2
	v_mul_f64_e32 v[16:17], v[6:7], v[2:3]
	v_mul_f64_e32 v[2:3], v[4:5], v[2:3]
	s_delay_alu instid0(VALU_DEP_2) | instskip(NEXT) | instid1(VALU_DEP_2)
	v_fma_f64 v[4:5], v[4:5], v[0:1], v[16:17]
	v_fma_f64 v[2:3], v[0:1], v[6:7], -v[2:3]
	scratch_load_b64 v[0:1], off, off th:TH_LOAD_LU ; 8-byte Folded Reload
	v_mad_co_u64_u32 v[16:17], null, s4, v104, 0
	s_wait_alu 0xfffe
	v_mul_f64_e32 v[2:3], s[0:1], v[2:3]
	s_wait_loadcnt 0x0
	v_mov_b32_e32 v18, v0
	v_mul_f64_e32 v[0:1], s[0:1], v[4:5]
	s_delay_alu instid0(VALU_DEP_4) | instskip(NEXT) | instid1(VALU_DEP_3)
	v_mov_b32_e32 v5, v17
	v_mad_co_u64_u32 v[6:7], null, s6, v18, 0
	s_delay_alu instid0(VALU_DEP_1) | instskip(NEXT) | instid1(VALU_DEP_1)
	v_mov_b32_e32 v4, v7
	v_mad_co_u64_u32 v[17:18], null, s7, v18, v[4:5]
	s_delay_alu instid0(VALU_DEP_3) | instskip(NEXT) | instid1(VALU_DEP_2)
	v_mad_co_u64_u32 v[4:5], null, s5, v104, v[5:6]
	v_mov_b32_e32 v7, v17
	s_delay_alu instid0(VALU_DEP_2) | instskip(NEXT) | instid1(VALU_DEP_2)
	v_mov_b32_e32 v17, v4
	v_lshlrev_b64_e32 v[4:5], 4, v[6:7]
	s_delay_alu instid0(VALU_DEP_2) | instskip(NEXT) | instid1(VALU_DEP_2)
	v_lshlrev_b64_e32 v[6:7], 4, v[16:17]
	v_add_co_u32 v4, vcc_lo, s12, v4
	s_delay_alu instid0(VALU_DEP_3) | instskip(NEXT) | instid1(VALU_DEP_2)
	v_add_co_ci_u32_e32 v5, vcc_lo, s13, v5, vcc_lo
	v_add_co_u32 v4, vcc_lo, v4, v6
	s_wait_alu 0xfffd
	s_delay_alu instid0(VALU_DEP_2) | instskip(NEXT) | instid1(VALU_DEP_2)
	v_add_co_ci_u32_e32 v5, vcc_lo, v5, v7, vcc_lo
	v_add_co_u32 v16, vcc_lo, v4, s2
	global_store_b128 v[4:5], v[0:3], off
	global_load_b128 v[0:3], v168, s[8:9] offset:864
	s_wait_alu 0xfffd
	v_add_co_ci_u32_e32 v17, vcc_lo, s3, v5, vcc_lo
	s_wait_loadcnt_dscnt 0x1
	v_mul_f64_e32 v[6:7], v[10:11], v[2:3]
	v_mul_f64_e32 v[2:3], v[8:9], v[2:3]
	s_delay_alu instid0(VALU_DEP_2) | instskip(NEXT) | instid1(VALU_DEP_2)
	v_fma_f64 v[6:7], v[8:9], v[0:1], v[6:7]
	v_fma_f64 v[2:3], v[0:1], v[10:11], -v[2:3]
	s_delay_alu instid0(VALU_DEP_2) | instskip(NEXT) | instid1(VALU_DEP_2)
	v_mul_f64_e32 v[0:1], s[0:1], v[6:7]
	v_mul_f64_e32 v[2:3], s[0:1], v[2:3]
	global_store_b128 v[16:17], v[0:3], off
	global_load_b128 v[0:3], v168, s[8:9] offset:1728
	ds_load_b128 v[4:7], v168 offset:1728
	ds_load_b128 v[8:11], v168 offset:2592
	s_wait_loadcnt_dscnt 0x1
	v_mul_f64_e32 v[18:19], v[6:7], v[2:3]
	v_mul_f64_e32 v[2:3], v[4:5], v[2:3]
	s_delay_alu instid0(VALU_DEP_2) | instskip(NEXT) | instid1(VALU_DEP_2)
	v_fma_f64 v[4:5], v[4:5], v[0:1], v[18:19]
	v_fma_f64 v[2:3], v[0:1], v[6:7], -v[2:3]
	s_delay_alu instid0(VALU_DEP_2) | instskip(NEXT) | instid1(VALU_DEP_2)
	v_mul_f64_e32 v[0:1], s[0:1], v[4:5]
	v_mul_f64_e32 v[2:3], s[0:1], v[2:3]
	v_add_co_u32 v4, vcc_lo, v16, s2
	s_wait_alu 0xfffd
	v_add_co_ci_u32_e32 v5, vcc_lo, s3, v17, vcc_lo
	s_delay_alu instid0(VALU_DEP_2) | instskip(SKIP_1) | instid1(VALU_DEP_2)
	v_add_co_u32 v16, vcc_lo, v4, s2
	s_wait_alu 0xfffd
	v_add_co_ci_u32_e32 v17, vcc_lo, s3, v5, vcc_lo
	global_store_b128 v[4:5], v[0:3], off
	global_load_b128 v[0:3], v168, s[8:9] offset:2592
	s_wait_loadcnt_dscnt 0x0
	v_mul_f64_e32 v[6:7], v[10:11], v[2:3]
	v_mul_f64_e32 v[2:3], v[8:9], v[2:3]
	s_delay_alu instid0(VALU_DEP_2) | instskip(NEXT) | instid1(VALU_DEP_2)
	v_fma_f64 v[6:7], v[8:9], v[0:1], v[6:7]
	v_fma_f64 v[2:3], v[0:1], v[10:11], -v[2:3]
	s_delay_alu instid0(VALU_DEP_2) | instskip(NEXT) | instid1(VALU_DEP_2)
	v_mul_f64_e32 v[0:1], s[0:1], v[6:7]
	v_mul_f64_e32 v[2:3], s[0:1], v[2:3]
	global_store_b128 v[16:17], v[0:3], off
	global_load_b128 v[0:3], v168, s[8:9] offset:3456
	ds_load_b128 v[4:7], v168 offset:3456
	ds_load_b128 v[8:11], v168 offset:4320
	s_wait_loadcnt_dscnt 0x1
	v_mul_f64_e32 v[18:19], v[6:7], v[2:3]
	v_mul_f64_e32 v[2:3], v[4:5], v[2:3]
	s_delay_alu instid0(VALU_DEP_2) | instskip(NEXT) | instid1(VALU_DEP_2)
	v_fma_f64 v[4:5], v[4:5], v[0:1], v[18:19]
	v_fma_f64 v[2:3], v[0:1], v[6:7], -v[2:3]
	s_delay_alu instid0(VALU_DEP_2) | instskip(NEXT) | instid1(VALU_DEP_2)
	v_mul_f64_e32 v[0:1], s[0:1], v[4:5]
	v_mul_f64_e32 v[2:3], s[0:1], v[2:3]
	v_add_co_u32 v4, vcc_lo, v16, s2
	s_wait_alu 0xfffd
	v_add_co_ci_u32_e32 v5, vcc_lo, s3, v17, vcc_lo
	s_delay_alu instid0(VALU_DEP_2) | instskip(SKIP_1) | instid1(VALU_DEP_2)
	v_add_co_u32 v16, vcc_lo, v4, s2
	s_wait_alu 0xfffd
	v_add_co_ci_u32_e32 v17, vcc_lo, s3, v5, vcc_lo
	global_store_b128 v[4:5], v[0:3], off
	global_load_b128 v[0:3], v168, s[8:9] offset:4320
	;; [unrolled: 31-line block ×6, first 2 shown]
	s_wait_loadcnt_dscnt 0x0
	v_mul_f64_e32 v[6:7], v[10:11], v[2:3]
	v_mul_f64_e32 v[2:3], v[8:9], v[2:3]
	s_delay_alu instid0(VALU_DEP_2) | instskip(NEXT) | instid1(VALU_DEP_2)
	v_fma_f64 v[6:7], v[8:9], v[0:1], v[6:7]
	v_fma_f64 v[2:3], v[0:1], v[10:11], -v[2:3]
	s_delay_alu instid0(VALU_DEP_2) | instskip(NEXT) | instid1(VALU_DEP_2)
	v_mul_f64_e32 v[0:1], s[0:1], v[6:7]
	v_mul_f64_e32 v[2:3], s[0:1], v[2:3]
	global_store_b128 v[16:17], v[0:3], off
	global_load_b128 v[0:3], v168, s[8:9] offset:12096
	ds_load_b128 v[4:7], v168 offset:12096
	ds_load_b128 v[8:11], v168 offset:12960
	s_wait_loadcnt_dscnt 0x1
	v_mul_f64_e32 v[18:19], v[6:7], v[2:3]
	v_mul_f64_e32 v[2:3], v[4:5], v[2:3]
	s_delay_alu instid0(VALU_DEP_2) | instskip(NEXT) | instid1(VALU_DEP_2)
	v_fma_f64 v[4:5], v[4:5], v[0:1], v[18:19]
	v_fma_f64 v[2:3], v[0:1], v[6:7], -v[2:3]
	s_delay_alu instid0(VALU_DEP_2) | instskip(NEXT) | instid1(VALU_DEP_2)
	v_mul_f64_e32 v[0:1], s[0:1], v[4:5]
	v_mul_f64_e32 v[2:3], s[0:1], v[2:3]
	v_add_co_u32 v4, vcc_lo, v16, s2
	s_wait_alu 0xfffd
	v_add_co_ci_u32_e32 v5, vcc_lo, s3, v17, vcc_lo
	global_store_b128 v[4:5], v[0:3], off
	global_load_b128 v[0:3], v168, s[8:9] offset:12960
	v_add_co_u32 v4, vcc_lo, v4, s2
	s_wait_alu 0xfffd
	v_add_co_ci_u32_e32 v5, vcc_lo, s3, v5, vcc_lo
	s_wait_loadcnt_dscnt 0x0
	v_mul_f64_e32 v[6:7], v[10:11], v[2:3]
	v_mul_f64_e32 v[2:3], v[8:9], v[2:3]
	s_delay_alu instid0(VALU_DEP_2) | instskip(NEXT) | instid1(VALU_DEP_2)
	v_fma_f64 v[6:7], v[8:9], v[0:1], v[6:7]
	v_fma_f64 v[2:3], v[0:1], v[10:11], -v[2:3]
	s_delay_alu instid0(VALU_DEP_2) | instskip(NEXT) | instid1(VALU_DEP_2)
	v_mul_f64_e32 v[0:1], s[0:1], v[6:7]
	v_mul_f64_e32 v[2:3], s[0:1], v[2:3]
	global_store_b128 v[4:5], v[0:3], off
	global_load_b128 v[0:3], v168, s[8:9] offset:13824
	v_add_co_u32 v4, vcc_lo, v4, s2
	s_wait_alu 0xfffd
	v_add_co_ci_u32_e32 v5, vcc_lo, s3, v5, vcc_lo
	s_wait_loadcnt 0x0
	v_mul_f64_e32 v[6:7], v[14:15], v[2:3]
	v_mul_f64_e32 v[2:3], v[12:13], v[2:3]
	s_delay_alu instid0(VALU_DEP_2) | instskip(NEXT) | instid1(VALU_DEP_2)
	v_fma_f64 v[6:7], v[12:13], v[0:1], v[6:7]
	v_fma_f64 v[2:3], v[0:1], v[14:15], -v[2:3]
	s_delay_alu instid0(VALU_DEP_2) | instskip(NEXT) | instid1(VALU_DEP_2)
	v_mul_f64_e32 v[0:1], s[0:1], v[6:7]
	v_mul_f64_e32 v[2:3], s[0:1], v[2:3]
	global_store_b128 v[4:5], v[0:3], off
.LBB0_23:
	s_endpgm
	.section	.rodata,"a",@progbits
	.p2align	6, 0x0
	.amdhsa_kernel bluestein_single_back_len918_dim1_dp_op_CI_CI
		.amdhsa_group_segment_fixed_size 14688
		.amdhsa_private_segment_fixed_size 652
		.amdhsa_kernarg_size 104
		.amdhsa_user_sgpr_count 2
		.amdhsa_user_sgpr_dispatch_ptr 0
		.amdhsa_user_sgpr_queue_ptr 0
		.amdhsa_user_sgpr_kernarg_segment_ptr 1
		.amdhsa_user_sgpr_dispatch_id 0
		.amdhsa_user_sgpr_private_segment_size 0
		.amdhsa_wavefront_size32 1
		.amdhsa_uses_dynamic_stack 0
		.amdhsa_enable_private_segment 1
		.amdhsa_system_sgpr_workgroup_id_x 1
		.amdhsa_system_sgpr_workgroup_id_y 0
		.amdhsa_system_sgpr_workgroup_id_z 0
		.amdhsa_system_sgpr_workgroup_info 0
		.amdhsa_system_vgpr_workitem_id 0
		.amdhsa_next_free_vgpr 256
		.amdhsa_next_free_sgpr 58
		.amdhsa_reserve_vcc 1
		.amdhsa_float_round_mode_32 0
		.amdhsa_float_round_mode_16_64 0
		.amdhsa_float_denorm_mode_32 3
		.amdhsa_float_denorm_mode_16_64 3
		.amdhsa_fp16_overflow 0
		.amdhsa_workgroup_processor_mode 1
		.amdhsa_memory_ordered 1
		.amdhsa_forward_progress 0
		.amdhsa_round_robin_scheduling 0
		.amdhsa_exception_fp_ieee_invalid_op 0
		.amdhsa_exception_fp_denorm_src 0
		.amdhsa_exception_fp_ieee_div_zero 0
		.amdhsa_exception_fp_ieee_overflow 0
		.amdhsa_exception_fp_ieee_underflow 0
		.amdhsa_exception_fp_ieee_inexact 0
		.amdhsa_exception_int_div_zero 0
	.end_amdhsa_kernel
	.text
.Lfunc_end0:
	.size	bluestein_single_back_len918_dim1_dp_op_CI_CI, .Lfunc_end0-bluestein_single_back_len918_dim1_dp_op_CI_CI
                                        ; -- End function
	.section	.AMDGPU.csdata,"",@progbits
; Kernel info:
; codeLenInByte = 23328
; NumSgprs: 60
; NumVgprs: 256
; ScratchSize: 652
; MemoryBound: 0
; FloatMode: 240
; IeeeMode: 1
; LDSByteSize: 14688 bytes/workgroup (compile time only)
; SGPRBlocks: 7
; VGPRBlocks: 31
; NumSGPRsForWavesPerEU: 60
; NumVGPRsForWavesPerEU: 256
; Occupancy: 5
; WaveLimiterHint : 1
; COMPUTE_PGM_RSRC2:SCRATCH_EN: 1
; COMPUTE_PGM_RSRC2:USER_SGPR: 2
; COMPUTE_PGM_RSRC2:TRAP_HANDLER: 0
; COMPUTE_PGM_RSRC2:TGID_X_EN: 1
; COMPUTE_PGM_RSRC2:TGID_Y_EN: 0
; COMPUTE_PGM_RSRC2:TGID_Z_EN: 0
; COMPUTE_PGM_RSRC2:TIDIG_COMP_CNT: 0
	.text
	.p2alignl 7, 3214868480
	.fill 96, 4, 3214868480
	.type	__hip_cuid_b178d97861e3e083,@object ; @__hip_cuid_b178d97861e3e083
	.section	.bss,"aw",@nobits
	.globl	__hip_cuid_b178d97861e3e083
__hip_cuid_b178d97861e3e083:
	.byte	0                               ; 0x0
	.size	__hip_cuid_b178d97861e3e083, 1

	.ident	"AMD clang version 19.0.0git (https://github.com/RadeonOpenCompute/llvm-project roc-6.4.0 25133 c7fe45cf4b819c5991fe208aaa96edf142730f1d)"
	.section	".note.GNU-stack","",@progbits
	.addrsig
	.addrsig_sym __hip_cuid_b178d97861e3e083
	.amdgpu_metadata
---
amdhsa.kernels:
  - .args:
      - .actual_access:  read_only
        .address_space:  global
        .offset:         0
        .size:           8
        .value_kind:     global_buffer
      - .actual_access:  read_only
        .address_space:  global
        .offset:         8
        .size:           8
        .value_kind:     global_buffer
      - .actual_access:  read_only
        .address_space:  global
        .offset:         16
        .size:           8
        .value_kind:     global_buffer
      - .actual_access:  read_only
        .address_space:  global
        .offset:         24
        .size:           8
        .value_kind:     global_buffer
      - .actual_access:  read_only
        .address_space:  global
        .offset:         32
        .size:           8
        .value_kind:     global_buffer
      - .offset:         40
        .size:           8
        .value_kind:     by_value
      - .address_space:  global
        .offset:         48
        .size:           8
        .value_kind:     global_buffer
      - .address_space:  global
        .offset:         56
        .size:           8
        .value_kind:     global_buffer
      - .address_space:  global
        .offset:         64
        .size:           8
        .value_kind:     global_buffer
      - .address_space:  global
        .offset:         72
        .size:           8
        .value_kind:     global_buffer
      - .offset:         80
        .size:           4
        .value_kind:     by_value
      - .address_space:  global
        .offset:         88
        .size:           8
        .value_kind:     global_buffer
      - .address_space:  global
        .offset:         96
        .size:           8
        .value_kind:     global_buffer
    .group_segment_fixed_size: 14688
    .kernarg_segment_align: 8
    .kernarg_segment_size: 104
    .language:       OpenCL C
    .language_version:
      - 2
      - 0
    .max_flat_workgroup_size: 102
    .name:           bluestein_single_back_len918_dim1_dp_op_CI_CI
    .private_segment_fixed_size: 652
    .sgpr_count:     60
    .sgpr_spill_count: 0
    .symbol:         bluestein_single_back_len918_dim1_dp_op_CI_CI.kd
    .uniform_work_group_size: 1
    .uses_dynamic_stack: false
    .vgpr_count:     256
    .vgpr_spill_count: 192
    .wavefront_size: 32
    .workgroup_processor_mode: 1
amdhsa.target:   amdgcn-amd-amdhsa--gfx1201
amdhsa.version:
  - 1
  - 2
...

	.end_amdgpu_metadata
